;; amdgpu-corpus repo=LLNL/RAJAPerf kind=compiled arch=gfx1250 opt=O3
	.amdgcn_target "amdgcn-amd-amdhsa--gfx1250"
	.amdhsa_code_object_version 6
	.section	.text._ZN8rajaperf4apps6edge3dILm256EEEvPdS2_S2_S2_S2_S2_S2_S2_S2_S2_S2_S2_S2_S2_S2_S2_S2_S2_S2_S2_S2_S2_S2_S2_S2_ll,"axG",@progbits,_ZN8rajaperf4apps6edge3dILm256EEEvPdS2_S2_S2_S2_S2_S2_S2_S2_S2_S2_S2_S2_S2_S2_S2_S2_S2_S2_S2_S2_S2_S2_S2_S2_ll,comdat
	.protected	_ZN8rajaperf4apps6edge3dILm256EEEvPdS2_S2_S2_S2_S2_S2_S2_S2_S2_S2_S2_S2_S2_S2_S2_S2_S2_S2_S2_S2_S2_S2_S2_S2_ll ; -- Begin function _ZN8rajaperf4apps6edge3dILm256EEEvPdS2_S2_S2_S2_S2_S2_S2_S2_S2_S2_S2_S2_S2_S2_S2_S2_S2_S2_S2_S2_S2_S2_S2_S2_ll
	.globl	_ZN8rajaperf4apps6edge3dILm256EEEvPdS2_S2_S2_S2_S2_S2_S2_S2_S2_S2_S2_S2_S2_S2_S2_S2_S2_S2_S2_S2_S2_S2_S2_S2_ll
	.p2align	8
	.type	_ZN8rajaperf4apps6edge3dILm256EEEvPdS2_S2_S2_S2_S2_S2_S2_S2_S2_S2_S2_S2_S2_S2_S2_S2_S2_S2_S2_S2_S2_S2_S2_S2_ll,@function
_ZN8rajaperf4apps6edge3dILm256EEEvPdS2_S2_S2_S2_S2_S2_S2_S2_S2_S2_S2_S2_S2_S2_S2_S2_S2_S2_S2_S2_S2_S2_S2_S2_ll: ; @_ZN8rajaperf4apps6edge3dILm256EEEvPdS2_S2_S2_S2_S2_S2_S2_S2_S2_S2_S2_S2_S2_S2_S2_S2_S2_S2_S2_S2_S2_S2_S2_S2_ll
; %bb.0:
	s_clause 0x1
	s_load_b128 s[24:27], s[0:1], 0xc0
	s_load_b64 s[2:3], s[0:1], 0xd0
	s_bfe_u32 s4, ttmp6, 0x4000c
	s_and_b32 s5, ttmp6, 15
	s_add_co_i32 s4, s4, 1
	s_getreg_b32 s6, hwreg(HW_REG_IB_STS2, 6, 4)
	s_mul_i32 s4, ttmp9, s4
	s_mov_b32 s21, 0
	s_add_co_i32 s5, s5, s4
	s_cmp_eq_u32 s6, 0
	v_mov_b32_e32 v1, 0
	s_cselect_b32 s20, ttmp9, s5
	s_delay_alu instid0(SALU_CYCLE_1) | instskip(SKIP_2) | instid1(SALU_CYCLE_1)
	s_lshl_b64 s[4:5], s[20:21], 8
	s_wait_kmcnt 0x0
	s_add_nc_u64 s[4:5], s[26:27], s[4:5]
	v_add_nc_u64_e32 v[184:185], s[4:5], v[0:1]
	s_delay_alu instid0(VALU_DEP_1)
	v_cmp_gt_i64_e32 vcc_lo, s[2:3], v[184:185]
	s_and_saveexec_b32 s2, vcc_lo
	s_cbranch_execz .LBB0_10
; %bb.1:
	s_clause 0x2
	s_load_b512 s[4:19], s[0:1], 0x0
	s_load_b512 s[52:67], s[0:1], 0x40
	;; [unrolled: 1-line block ×3, first 2 shown]
	v_lshlrev_b64_e32 v[0:1], 3, v[184:185]
	s_mov_b32 s22, s21
	s_mov_b32 s23, s21
	;; [unrolled: 1-line block ×3, first 2 shown]
	v_mov_b64_e32 v[170:171], s[22:23]
	v_mov_b64_e32 v[34:35], 0
	;; [unrolled: 1-line block ×13, first 2 shown]
	s_wait_kmcnt 0x0
	v_add_nc_u64_e32 v[2:3], s[6:7], v[0:1]
	v_add_nc_u64_e32 v[4:5], s[8:9], v[0:1]
	;; [unrolled: 1-line block ×11, first 2 shown]
	global_load_b64 v[100:101], v[2:3], off
	global_load_b64 v[104:105], v[4:5], off
	;; [unrolled: 1-line block ×9, first 2 shown]
	s_wait_xcnt 0x7
	v_add_nc_u64_e32 v[4:5], s[40:41], v[0:1]
	v_add_nc_u64_e32 v[24:25], s[60:61], v[0:1]
	s_wait_xcnt 0x6
	v_add_nc_u64_e32 v[6:7], s[48:49], v[0:1]
	v_add_nc_u64_e32 v[26:27], s[62:63], v[0:1]
	;; [unrolled: 3-line block ×5, first 2 shown]
	s_wait_xcnt 0x2
	v_add_nc_u64_e32 v[14:15], s[44:45], v[0:1]
	global_load_b64 v[120:121], v[20:21], off
	global_load_b64 v[122:123], v[22:23], off
	;; [unrolled: 1-line block ×7, first 2 shown]
	s_wait_xcnt 0x0
	v_add_nc_u64_e32 v[2:3], s[24:25], v[0:1]
	v_add_nc_u64_e32 v[0:1], s[46:47], v[0:1]
	global_load_b64 v[134:135], v[4:5], off
	global_load_b64 v[136:137], v[6:7], off
	global_load_b64 v[138:139], v[8:9], off
	global_load_b64 v[140:141], v[10:11], off
	global_load_b64 v[142:143], v[12:13], off
	global_load_b64 v[144:145], v[14:15], off
	global_load_b64 v[146:147], v[0:1], off
	global_load_b64 v[148:149], v[2:3], off
	s_wait_xcnt 0x0
	v_mov_b64_e32 v[2:3], 0
	v_mov_b64_e32 v[0:1], 0.5
	v_mov_b64_e32 v[6:7], 0
	v_mov_b64_e32 v[10:11], 0
	;; [unrolled: 1-line block ×43, first 2 shown]
	s_mov_b32 s10, 0
	s_mov_b64 s[2:3], 0x3fcb0cb174df99c7
	s_mov_b32 s8, -1
	s_mov_b64 s[0:1], 0x358dee7a4ad4b81f
	s_clause 0x2b
	scratch_store_b64 off, v[0:1], off
	scratch_store_b64 off, v[0:1], off offset:8
	scratch_store_b128 off, v[168:171], off offset:16
	scratch_store_b128 off, v[168:171], off offset:32
	;; [unrolled: 1-line block ×31, first 2 shown]
	scratch_store_b64 off, v[2:3], off offset:200
	scratch_store_b128 off, v[168:171], off offset:376
	scratch_store_b64 off, v[2:3], off offset:392
	scratch_store_b128 off, v[168:171], off offset:568
	;; [unrolled: 2-line block ×5, first 2 shown]
	scratch_store_b64 off, v[2:3], off offset:1160
	s_wait_loadcnt 0x16
	v_add_f64_e64 v[202:203], v[104:105], -v[100:101]
	s_wait_loadcnt 0x15
	v_add_f64_e64 v[208:209], v[106:107], -v[104:105]
	;; [unrolled: 2-line block ×7, first 2 shown]
	v_add_f64_e64 v[206:207], v[106:107], -v[108:109]
	v_add_f64_e64 v[210:211], v[112:113], -v[110:111]
	;; [unrolled: 1-line block ×5, first 2 shown]
	v_mov_b64_e32 v[100:101], v[2:3]
	s_wait_loadcnt 0xe
	v_add_f64_e64 v[218:219], v[120:121], -v[118:119]
	s_wait_loadcnt 0xd
	v_add_f64_e64 v[224:225], v[122:123], -v[120:121]
	s_wait_loadcnt 0xc
	v_add_f64_e64 v[220:221], v[124:125], -v[118:119]
	s_wait_loadcnt 0xb
	v_add_f64_e64 v[194:195], v[126:127], -v[118:119]
	s_wait_loadcnt 0xa
	v_add_f64_e64 v[196:197], v[128:129], -v[120:121]
	s_wait_loadcnt 0x9
	v_add_f64_e64 v[198:199], v[130:131], -v[122:123]
	s_wait_loadcnt 0x8
	v_add_f64_e64 v[200:201], v[132:133], -v[124:125]
	v_add_f64_e64 v[222:223], v[122:123], -v[124:125]
	v_add_f64_e64 v[226:227], v[128:129], -v[126:127]
	;; [unrolled: 1-line block ×5, first 2 shown]
	s_wait_loadcnt 0x6
	v_add_f64_e64 v[234:235], v[136:137], -v[134:135]
	s_wait_loadcnt 0x5
	v_add_f64_e64 v[236:237], v[134:135], -v[138:139]
	;; [unrolled: 2-line block ×6, first 2 shown]
	v_add_f64_e64 v[246:247], v[144:145], -v[138:139]
	s_wait_loadcnt 0x0
	v_add_f64_e64 v[248:249], v[148:149], -v[144:145]
	v_add_f64_e64 v[250:251], v[136:137], -v[146:147]
	v_add_f64_e64 v[252:253], v[148:149], -v[146:147]
	v_add_f64_e64 v[254:255], v[142:143], -v[148:149]
	s_set_vgpr_msb 64                       ;  msbs: dst=1 src0=0 src1=0 src2=0
	v_add_f64_e64 v[0:1] /*v[256:257]*/, v[142:143], -v[136:137]
	s_set_vgpr_msb 0                        ;  msbs: dst=0 src0=0 src1=0 src2=0
	v_mov_b64_e32 v[106:107], 0
	v_mov_b64_e32 v[104:105], v[2:3]
	;; [unrolled: 1-line block ×22, first 2 shown]
.LBB0_2:                                ; =>This Loop Header: Depth=1
                                        ;     Child Loop BB0_3 Depth 2
                                        ;       Child Loop BB0_4 Depth 3
	s_set_vgpr_msb 64                       ;  msbs: dst=1 src0=0 src1=0 src2=0
	v_add_f64_e64 v[2:3] /*v[258:259]*/, -s[2:3], 1.0
	s_mov_b64 s[6:7], 0x3fcb0cb174df99c7
	s_xor_b32 s11, s8, -1
	s_mov_b32 s12, -1
	s_mov_b32 s8, 0
.LBB0_3:                                ;   Parent Loop BB0_2 Depth=1
                                        ; =>  This Loop Header: Depth=2
                                        ;       Child Loop BB0_4 Depth 3
	s_set_vgpr_msb 0                        ;  msbs: dst=0 src0=0 src1=0 src2=0
	scratch_load_b64 v[0:1], off, s10
	scratch_load_b64 v[148:149], off, s8
	s_set_vgpr_msb 0x45                     ;  msbs: dst=1 src0=1 src1=1 src2=0
	v_add_f64_e64 v[4:5] /*v[260:261]*/, -s[6:7], 1.0
	v_mul_f64_e64 v[16:17] /*v[272:273]*/, s[2:3], s[6:7]
	v_mul_f64_e32 v[18:19] /*v[274:275]*/, s[6:7], v[2:3] /*v[258:259]*/
	s_wait_xcnt 0x0
	s_mov_b64 s[8:9], 0x3fcb0cb174df99c7
	s_mov_b32 s13, -1
	s_xor_b32 s12, s12, -1
	s_mov_b32 s14, 0
	s_delay_alu instid0(VALU_DEP_3) | instskip(SKIP_2) | instid1(VALU_DEP_2)
	v_mul_f64_e32 v[6:7] /*v[262:263]*/, s[2:3], v[4:5] /*v[260:261]*/
	v_mul_f64_e32 v[8:9] /*v[264:265]*/, v[2:3] /*v[258:259]*/, v[4:5] /*v[260:261]*/
	s_set_vgpr_msb 0x44                     ;  msbs: dst=1 src0=0 src1=1 src2=0
	v_mul_f64_e32 v[10:11] /*v[266:267]*/, v[188:189], v[6:7] /*v[262:263]*/
	v_mul_f64_e32 v[12:13] /*v[268:269]*/, v[196:197], v[6:7] /*v[262:263]*/
	;; [unrolled: 1-line block ×3, first 2 shown]
	s_delay_alu instid0(VALU_DEP_3) | instskip(NEXT) | instid1(VALU_DEP_3)
	v_fmac_f64_e32 v[10:11] /*v[266:267]*/, v[186:187], v[8:9] /*v[264:265]*/
	v_fmac_f64_e32 v[12:13] /*v[268:269]*/, v[194:195], v[8:9] /*v[264:265]*/
	s_delay_alu instid0(VALU_DEP_3) | instskip(NEXT) | instid1(VALU_DEP_3)
	v_fmac_f64_e32 v[14:15] /*v[270:271]*/, v[244:245], v[8:9] /*v[264:265]*/
	v_fmac_f64_e32 v[10:11] /*v[266:267]*/, v[190:191], v[16:17] /*v[272:273]*/
	;; [unrolled: 3-line block ×4, first 2 shown]
	s_delay_alu instid0(VALU_DEP_3)
	v_fmac_f64_e32 v[14:15] /*v[270:271]*/, v[248:249], v[18:19] /*v[274:275]*/
	s_wait_loadcnt 0x0
	s_set_vgpr_msb 64                       ;  msbs: dst=1 src0=0 src1=0 src2=0
	v_mul_f64_e32 v[20:21] /*v[276:277]*/, v[0:1], v[148:149]
.LBB0_4:                                ;   Parent Loop BB0_2 Depth=1
                                        ;     Parent Loop BB0_3 Depth=2
                                        ; =>    This Inner Loop Header: Depth=3
	s_wait_xcnt 0x3
	s_set_vgpr_msb 4                        ;  msbs: dst=0 src0=0 src1=1 src2=0
	v_add_f64_e64 v[176:177], -s[8:9], 1.0
	s_wait_xcnt 0x2
	v_mul_f64_e32 v[160:161], s[8:9], v[4:5] /*v[260:261]*/
	v_mul_f64_e32 v[172:173], s[8:9], v[2:3] /*v[258:259]*/
	v_mul_f64_e64 v[164:165], s[6:7], s[8:9]
	v_mul_f64_e64 v[170:171], s[2:3], s[8:9]
	s_set_vgpr_msb 1                        ;  msbs: dst=0 src0=1 src1=0 src2=0
	v_mul_f64_e32 v[148:149], s[6:7], v[176:177]
	s_wait_xcnt 0x0
	v_mul_f64_e32 v[0:1], v[2:3] /*v[258:259]*/, v[176:177]
	v_mul_f64_e32 v[156:157], v[4:5] /*v[260:261]*/, v[176:177]
	v_mul_f64_e32 v[152:153], s[2:3], v[176:177]
	s_set_vgpr_msb 0                        ;  msbs: dst=0 src0=0 src1=0 src2=0
	s_delay_alu instid0(VALU_DEP_4) | instskip(SKIP_1) | instid1(VALU_DEP_4)
	v_mul_f64_e32 v[178:179], v[242:243], v[148:149]
	s_set_vgpr_msb 64                       ;  msbs: dst=1 src0=0 src1=0 src2=0
	v_mul_f64_e32 v[22:23] /*v[278:279]*/, v[220:221], v[0:1]
	s_set_vgpr_msb 0                        ;  msbs: dst=0 src0=0 src1=0 src2=0
	v_mul_f64_e32 v[182:183], v[222:223], v[148:149]
	v_mul_f64_e32 v[180:181], v[246:247], v[0:1]
	s_set_vgpr_msb 64                       ;  msbs: dst=1 src0=0 src1=0 src2=0
	v_mul_f64_e32 v[24:25] /*v[280:281]*/, v[204:205], v[0:1]
	v_mul_f64_e32 v[26:27] /*v[282:283]*/, v[206:207], v[148:149]
	s_set_vgpr_msb 0                        ;  msbs: dst=0 src0=0 src1=0 src2=0
	v_fmac_f64_e32 v[178:179], v[236:237], v[156:157]
	s_set_vgpr_msb 64                       ;  msbs: dst=1 src0=0 src1=0 src2=0
	v_fmac_f64_e32 v[22:23] /*v[278:279]*/, v[224:225], v[152:153]
	s_set_vgpr_msb 0                        ;  msbs: dst=0 src0=0 src1=0 src2=0
	v_fmac_f64_e32 v[182:183], v[218:219], v[156:157]
	v_fmac_f64_e32 v[180:181], v[238:239], v[152:153]
	s_set_vgpr_msb 64                       ;  msbs: dst=1 src0=0 src1=0 src2=0
	v_fmac_f64_e32 v[24:25] /*v[280:281]*/, v[208:209], v[152:153]
	v_fmac_f64_e32 v[26:27] /*v[282:283]*/, v[202:203], v[156:157]
	s_set_vgpr_msb 0                        ;  msbs: dst=0 src0=0 src1=0 src2=0
	v_fmac_f64_e32 v[178:179], v[250:251], v[160:161]
	s_set_vgpr_msb 64                       ;  msbs: dst=1 src0=0 src1=0 src2=0
	v_fmac_f64_e32 v[22:23] /*v[278:279]*/, v[228:229], v[172:173]
	s_set_vgpr_msb 0                        ;  msbs: dst=0 src0=0 src1=0 src2=0
	v_fmac_f64_e32 v[182:183], v[226:227], v[160:161]
	v_fmac_f64_e32 v[180:181], v[252:253], v[172:173]
	s_set_vgpr_msb 64                       ;  msbs: dst=1 src0=0 src1=0 src2=0
	v_fmac_f64_e32 v[24:25] /*v[280:281]*/, v[212:213], v[172:173]
	v_fmac_f64_e32 v[26:27] /*v[282:283]*/, v[210:211], v[160:161]
	s_set_vgpr_msb 0                        ;  msbs: dst=0 src0=0 src1=0 src2=0
	v_fmac_f64_e32 v[178:179], v[254:255], v[164:165]
	s_set_vgpr_msb 64                       ;  msbs: dst=1 src0=0 src1=0 src2=0
	v_fmac_f64_e32 v[22:23] /*v[278:279]*/, v[232:233], v[170:171]
	s_set_vgpr_msb 0                        ;  msbs: dst=0 src0=0 src1=0 src2=0
	v_fmac_f64_e32 v[182:183], v[230:231], v[164:165]
	s_set_vgpr_msb 1                        ;  msbs: dst=0 src0=1 src1=0 src2=0
	v_fmac_f64_e32 v[180:181], v[0:1] /*v[256:257]*/, v[170:171]
	s_set_vgpr_msb 64                       ;  msbs: dst=1 src0=0 src1=0 src2=0
	v_fmac_f64_e32 v[24:25] /*v[280:281]*/, v[216:217], v[170:171]
	v_fmac_f64_e32 v[26:27] /*v[282:283]*/, v[214:215], v[164:165]
	s_set_vgpr_msb 0x41                     ;  msbs: dst=1 src0=1 src1=0 src2=0
	v_mul_f64_e32 v[32:33] /*v[288:289]*/, v[22:23] /*v[278:279]*/, v[178:179]
	s_set_vgpr_msb 0x45                     ;  msbs: dst=1 src0=1 src1=1 src2=0
	v_mul_f64_e32 v[46:47] /*v[302:303]*/, v[10:11] /*v[266:267]*/, v[22:23] /*v[278:279]*/
	s_set_vgpr_msb 0                        ;  msbs: dst=0 src0=0 src1=0 src2=0
	v_mul_f64_e32 v[168:169], v[182:183], v[180:181]
	s_set_vgpr_msb 0x41                     ;  msbs: dst=1 src0=1 src1=0 src2=0
	s_delay_alu instid0(VALU_DEP_4)
	v_mul_f64_e32 v[34:35] /*v[290:291]*/, v[26:27] /*v[282:283]*/, v[180:181]
	s_set_vgpr_msb 0x45                     ;  msbs: dst=1 src0=1 src1=1 src2=0
	v_mul_f64_e32 v[28:29] /*v[284:285]*/, v[26:27] /*v[282:283]*/, v[22:23] /*v[278:279]*/
	v_mul_f64_e32 v[48:49] /*v[304:305]*/, v[12:13] /*v[268:269]*/, v[26:27] /*v[282:283]*/
	s_set_vgpr_msb 5                        ;  msbs: dst=0 src0=1 src1=1 src2=0
	v_mul_f64_e32 v[174:175], v[10:11] /*v[266:267]*/, v[32:33] /*v[288:289]*/
	s_set_vgpr_msb 0x50                     ;  msbs: dst=1 src0=0 src1=0 src2=1
	v_fma_f64 v[32:33] /*v[288:289]*/, v[182:183], v[180:181], -v[32:33] /*v[288:289]*/
	s_set_vgpr_msb 0x55                     ;  msbs: dst=1 src0=1 src1=1 src2=1
	v_fma_f64 v[46:47] /*v[302:303]*/, v[12:13] /*v[268:269]*/, v[24:25] /*v[280:281]*/, -v[46:47] /*v[302:303]*/
	s_set_vgpr_msb 0x51                     ;  msbs: dst=1 src0=1 src1=0 src2=1
	s_delay_alu instid0(VALU_DEP_4) | instskip(SKIP_1) | instid1(VALU_DEP_4)
	v_fma_f64 v[48:49] /*v[304:305]*/, v[10:11] /*v[266:267]*/, v[182:183], -v[48:49] /*v[304:305]*/
	s_set_vgpr_msb 1                        ;  msbs: dst=0 src0=1 src1=0 src2=0
	v_fma_f64 v[168:169], v[10:11] /*v[266:267]*/, v[168:169], -v[174:175]
	v_mul_f64_e32 v[174:175], v[24:25] /*v[280:281]*/, v[178:179]
	s_delay_alu instid0(VALU_DEP_1) | instskip(SKIP_2) | instid1(VALU_DEP_2)
	v_fmac_f64_e32 v[168:169], v[12:13] /*v[268:269]*/, v[174:175]
	v_mul_f64_e32 v[174:175], v[24:25] /*v[280:281]*/, v[182:183]
	s_set_vgpr_msb 5                        ;  msbs: dst=0 src0=1 src1=1 src2=0
	v_fma_f64 v[168:169], -v[12:13] /*v[268:269]*/, v[34:35] /*v[290:291]*/, v[168:169]
	s_set_vgpr_msb 0x51                     ;  msbs: dst=1 src0=1 src1=0 src2=1
	v_fma_f64 v[34:35] /*v[290:291]*/, v[24:25] /*v[280:281]*/, v[178:179], -v[34:35] /*v[290:291]*/
	s_set_vgpr_msb 1                        ;  msbs: dst=0 src0=1 src1=0 src2=0
	s_delay_alu instid0(VALU_DEP_2) | instskip(SKIP_2) | instid1(VALU_DEP_2)
	v_fma_f64 v[168:169], -v[14:15] /*v[270:271]*/, v[174:175], v[168:169]
	s_set_vgpr_msb 5                        ;  msbs: dst=0 src0=1 src1=1 src2=0
	v_fma_f64 v[174:175], v[26:27] /*v[282:283]*/, v[22:23] /*v[278:279]*/, -v[174:175]
	v_fmac_f64_e32 v[168:169], v[14:15] /*v[270:271]*/, v[28:29] /*v[284:285]*/
	s_set_vgpr_msb 64                       ;  msbs: dst=1 src0=0 src1=0 src2=0
	s_delay_alu instid0(VALU_DEP_1) | instskip(SKIP_1) | instid1(VALU_DEP_1)
	v_add_f64_e32 v[36:37] /*v[292:293]*/, 0x358dee7a4ad4b81f, v[168:169]
	s_set_vgpr_msb 0x55                     ;  msbs: dst=1 src0=1 src1=1 src2=1
	v_div_scale_f64 v[28:29] /*v[284:285]*/, null, v[36:37] /*v[292:293]*/, v[36:37] /*v[292:293]*/, 1.0
	s_delay_alu instid0(VALU_DEP_1) | instskip(SKIP_1) | instid1(TRANS32_DEP_1)
	v_rcp_f64_e32 v[30:31] /*v[286:287]*/, v[28:29] /*v[284:285]*/
	v_nop
	v_fma_f64 v[38:39] /*v[294:295]*/, -v[28:29] /*v[284:285]*/, v[30:31] /*v[286:287]*/, 1.0
	s_delay_alu instid0(VALU_DEP_1) | instskip(NEXT) | instid1(VALU_DEP_1)
	v_fmac_f64_e32 v[30:31] /*v[286:287]*/, v[30:31] /*v[286:287]*/, v[38:39] /*v[294:295]*/
	v_fma_f64 v[38:39] /*v[294:295]*/, -v[28:29] /*v[284:285]*/, v[30:31] /*v[286:287]*/, 1.0
	s_delay_alu instid0(VALU_DEP_1) | instskip(SKIP_1) | instid1(VALU_DEP_1)
	v_fmac_f64_e32 v[30:31] /*v[286:287]*/, v[30:31] /*v[286:287]*/, v[38:39] /*v[294:295]*/
	v_div_scale_f64 v[38:39] /*v[294:295]*/, vcc_lo, 1.0, v[36:37] /*v[292:293]*/, 1.0
	v_mul_f64_e32 v[40:41] /*v[296:297]*/, v[38:39] /*v[294:295]*/, v[30:31] /*v[286:287]*/
	s_delay_alu instid0(VALU_DEP_1) | instskip(NEXT) | instid1(VALU_DEP_1)
	v_fma_f64 v[28:29] /*v[284:285]*/, -v[28:29] /*v[284:285]*/, v[40:41] /*v[296:297]*/, v[38:39] /*v[294:295]*/
	v_div_fmas_f64 v[38:39] /*v[294:295]*/, v[28:29] /*v[284:285]*/, v[30:31] /*v[286:287]*/, v[40:41] /*v[296:297]*/
	s_set_vgpr_msb 64                       ;  msbs: dst=1 src0=0 src1=0 src2=0
	v_add_f64_e64 v[28:29] /*v[284:285]*/, |v[168:169]|, s[0:1]
	s_set_vgpr_msb 0x45                     ;  msbs: dst=1 src0=1 src1=1 src2=0
	s_delay_alu instid0(VALU_DEP_2) | instskip(NEXT) | instid1(VALU_DEP_2)
	v_div_fixup_f64 v[36:37] /*v[292:293]*/, v[38:39] /*v[294:295]*/, v[36:37] /*v[292:293]*/, 1.0
	v_div_scale_f64 v[30:31] /*v[286:287]*/, null, v[28:29] /*v[284:285]*/, v[28:29] /*v[284:285]*/, 1.0
	s_set_vgpr_msb 0x41                     ;  msbs: dst=1 src0=1 src1=0 src2=0
	v_mul_f64_e32 v[38:39] /*v[294:295]*/, v[12:13] /*v[268:269]*/, v[180:181]
	s_set_vgpr_msb 0x55                     ;  msbs: dst=1 src0=1 src1=1 src2=1
	v_mul_f64_e32 v[64:65] /*v[320:321]*/, v[32:33] /*v[288:289]*/, v[36:37] /*v[292:293]*/
	v_rcp_f64_e32 v[40:41] /*v[296:297]*/, v[30:31] /*v[286:287]*/
	v_mul_f64_e32 v[66:67] /*v[322:323]*/, v[34:35] /*v[290:291]*/, v[36:37] /*v[292:293]*/
	s_delay_alu instid0(VALU_DEP_3) | instskip(SKIP_4) | instid1(VALU_DEP_3)
	v_fma_f64 v[38:39] /*v[294:295]*/, v[14:15] /*v[270:271]*/, v[22:23] /*v[278:279]*/, -v[38:39] /*v[294:295]*/
	v_mul_f64_e32 v[46:47] /*v[302:303]*/, v[46:47] /*v[302:303]*/, v[36:37] /*v[292:293]*/
	v_mul_f64_e32 v[56:57] /*v[312:313]*/, v[48:49] /*v[304:305]*/, v[36:37] /*v[292:293]*/
	s_set_vgpr_msb 0x44                     ;  msbs: dst=1 src0=0 src1=1 src2=0
	v_mul_f64_e32 v[68:69] /*v[324:325]*/, v[174:175], v[36:37] /*v[292:293]*/
	v_mul_f64_e32 v[86:87] /*v[342:343]*/, 0, v[46:47] /*v[302:303]*/
	s_delay_alu instid0(VALU_DEP_3) | instskip(SKIP_1) | instid1(TRANS32_DEP_1)
	v_mul_f64_e32 v[76:77] /*v[332:333]*/, 0, v[56:57] /*v[312:313]*/
	s_set_vgpr_msb 0x45                     ;  msbs: dst=1 src0=1 src1=1 src2=0
	v_fma_f64 v[42:43] /*v[298:299]*/, -v[30:31] /*v[286:287]*/, v[40:41] /*v[296:297]*/, 1.0
	s_set_vgpr_msb 0x54                     ;  msbs: dst=1 src0=0 src1=1 src2=1
	s_delay_alu instid0(VALU_DEP_3) | instskip(NEXT) | instid1(VALU_DEP_3)
	v_fma_f64 v[92:93] /*v[348:349]*/, v[170:171], v[56:57] /*v[312:313]*/, v[86:87] /*v[342:343]*/
	v_fma_f64 v[80:81] /*v[336:337]*/, v[160:161], v[46:47] /*v[302:303]*/, v[76:77] /*v[332:333]*/
	s_set_vgpr_msb 0x55                     ;  msbs: dst=1 src0=1 src1=1 src2=1
	s_delay_alu instid0(VALU_DEP_3) | instskip(NEXT) | instid1(VALU_DEP_3)
	v_fmac_f64_e32 v[40:41] /*v[296:297]*/, v[40:41] /*v[296:297]*/, v[42:43] /*v[298:299]*/
	v_fmac_f64_e32 v[92:93] /*v[348:349]*/, 0, v[68:69] /*v[324:325]*/
	s_delay_alu instid0(VALU_DEP_3) | instskip(NEXT) | instid1(VALU_DEP_3)
	v_fmac_f64_e32 v[80:81] /*v[336:337]*/, 0, v[68:69] /*v[324:325]*/
	v_fma_f64 v[42:43] /*v[298:299]*/, -v[30:31] /*v[286:287]*/, v[40:41] /*v[296:297]*/, 1.0
	s_delay_alu instid0(VALU_DEP_1) | instskip(SKIP_1) | instid1(VALU_DEP_1)
	v_fmac_f64_e32 v[40:41] /*v[296:297]*/, v[40:41] /*v[296:297]*/, v[42:43] /*v[298:299]*/
	v_div_scale_f64 v[42:43] /*v[298:299]*/, vcc_lo, 1.0, v[28:29] /*v[284:285]*/, 1.0
	v_mul_f64_e32 v[44:45] /*v[300:301]*/, v[42:43] /*v[298:299]*/, v[40:41] /*v[296:297]*/
	s_delay_alu instid0(VALU_DEP_1) | instskip(SKIP_1) | instid1(VALU_DEP_2)
	v_fma_f64 v[30:31] /*v[286:287]*/, -v[30:31] /*v[286:287]*/, v[44:45] /*v[300:301]*/, v[42:43] /*v[298:299]*/
	v_mul_f64_e32 v[42:43] /*v[298:299]*/, v[14:15] /*v[270:271]*/, v[24:25] /*v[280:281]*/
	v_div_fmas_f64 v[30:31] /*v[286:287]*/, v[30:31] /*v[286:287]*/, v[40:41] /*v[296:297]*/, v[44:45] /*v[300:301]*/
	scratch_load_b64 v[40:41] /*v[296:297]*/, off, s14
	s_set_vgpr_msb 0x51                     ;  msbs: dst=1 src0=1 src1=0 src2=1
	v_mul_f64_e32 v[44:45] /*v[300:301]*/, v[10:11] /*v[266:267]*/, v[178:179]
	v_fma_f64 v[42:43] /*v[298:299]*/, v[10:11] /*v[266:267]*/, v[180:181], -v[42:43] /*v[298:299]*/
	s_wait_xcnt 0x0
	s_mov_b32 s14, 8
	s_set_vgpr_msb 0x55                     ;  msbs: dst=1 src0=1 src1=1 src2=1
	s_delay_alu instid0(VALU_DEP_2) | instskip(NEXT) | instid1(VALU_DEP_2)
	v_fma_f64 v[44:45] /*v[300:301]*/, v[14:15] /*v[270:271]*/, v[26:27] /*v[282:283]*/, -v[44:45] /*v[300:301]*/
	v_mul_f64_e32 v[50:51] /*v[306:307]*/, v[42:43] /*v[298:299]*/, v[36:37] /*v[292:293]*/
	s_delay_alu instid0(VALU_DEP_2) | instskip(SKIP_1) | instid1(VALU_DEP_3)
	v_mul_f64_e32 v[52:53] /*v[308:309]*/, v[44:45] /*v[300:301]*/, v[36:37] /*v[292:293]*/
	v_mul_f64_e32 v[44:45] /*v[300:301]*/, v[38:39] /*v[294:295]*/, v[36:37] /*v[292:293]*/
	v_mul_f64_e32 v[82:83] /*v[338:339]*/, 0, v[50:51] /*v[306:307]*/
	s_delay_alu instid0(VALU_DEP_3) | instskip(NEXT) | instid1(VALU_DEP_3)
	v_mul_f64_e32 v[70:71] /*v[326:327]*/, 0, v[52:53] /*v[308:309]*/
	v_mul_f64_e32 v[84:85] /*v[340:341]*/, 0, v[44:45] /*v[300:301]*/
	s_set_vgpr_msb 0x54                     ;  msbs: dst=1 src0=0 src1=1 src2=1
	s_delay_alu instid0(VALU_DEP_3) | instskip(NEXT) | instid1(VALU_DEP_3)
	v_fma_f64 v[88:89] /*v[344:345]*/, v[170:171], v[52:53] /*v[308:309]*/, v[82:83] /*v[338:339]*/
	v_fma_f64 v[32:33] /*v[288:289]*/, v[148:149], v[50:51] /*v[306:307]*/, v[70:71] /*v[326:327]*/
	;; [unrolled: 1-line block ×3, first 2 shown]
	s_delay_alu instid0(VALU_DEP_3) | instskip(NEXT) | instid1(VALU_DEP_3)
	v_fmac_f64_e32 v[88:89] /*v[344:345]*/, 0, v[66:67] /*v[322:323]*/
	v_fmac_f64_e32 v[32:33] /*v[288:289]*/, 0, v[66:67] /*v[322:323]*/
	s_delay_alu instid0(VALU_DEP_3) | instskip(SKIP_4) | instid1(VALU_DEP_1)
	v_fmac_f64_e32 v[72:73] /*v[328:329]*/, 0, v[66:67] /*v[322:323]*/
	s_wait_loadcnt 0x0
	s_set_vgpr_msb 0x45                     ;  msbs: dst=1 src0=1 src1=1 src2=0
	v_mul_f64_e32 v[40:41] /*v[296:297]*/, v[20:21] /*v[276:277]*/, v[40:41] /*v[296:297]*/
	s_set_vgpr_msb 1                        ;  msbs: dst=0 src0=1 src1=0 src2=0
	v_mul_f64_e64 v[168:169], v[40:41] /*v[296:297]*/, |v[168:169]|
	s_set_vgpr_msb 0x51                     ;  msbs: dst=1 src0=1 src1=0 src2=1
	v_mul_f64_e32 v[40:41] /*v[296:297]*/, v[14:15] /*v[270:271]*/, v[182:183]
	s_delay_alu instid0(VALU_DEP_1) | instskip(SKIP_1) | instid1(VALU_DEP_1)
	v_fma_f64 v[40:41] /*v[296:297]*/, v[12:13] /*v[268:269]*/, v[178:179], -v[40:41] /*v[296:297]*/
	s_set_vgpr_msb 0x45                     ;  msbs: dst=1 src0=1 src1=1 src2=0
	v_mul_f64_e32 v[54:55] /*v[310:311]*/, v[40:41] /*v[296:297]*/, v[36:37] /*v[292:293]*/
	s_set_vgpr_msb 0x54                     ;  msbs: dst=1 src0=0 src1=1 src2=1
	v_fma_f64 v[36:37] /*v[292:293]*/, v[156:157], v[50:51] /*v[306:307]*/, v[70:71] /*v[326:327]*/
	v_fmac_f64_e32 v[70:71] /*v[326:327]*/, v[164:165], v[50:51] /*v[306:307]*/
	s_delay_alu instid0(VALU_DEP_3) | instskip(NEXT) | instid1(VALU_DEP_3)
	v_mul_f64_e32 v[74:75] /*v[330:331]*/, 0, v[54:55] /*v[310:311]*/
	v_fmac_f64_e32 v[36:37] /*v[292:293]*/, 0, v[66:67] /*v[322:323]*/
	s_delay_alu instid0(VALU_DEP_3) | instskip(SKIP_1) | instid1(VALU_DEP_4)
	v_fmac_f64_e32 v[70:71] /*v[326:327]*/, 0, v[66:67] /*v[322:323]*/
	v_fma_f64 v[90:91] /*v[346:347]*/, v[170:171], v[54:55] /*v[310:311]*/, v[84:85] /*v[340:341]*/
	v_fma_f64 v[38:39] /*v[294:295]*/, v[156:157], v[44:45] /*v[300:301]*/, v[74:75] /*v[330:331]*/
	;; [unrolled: 1-line block ×4, first 2 shown]
	v_fmac_f64_e32 v[74:75] /*v[330:331]*/, v[164:165], v[44:45] /*v[300:301]*/
	s_set_vgpr_msb 20                       ;  msbs: dst=0 src0=0 src1=1 src2=1
	v_fma_f64 v[156:157], v[156:157], v[46:47] /*v[302:303]*/, v[76:77] /*v[332:333]*/
	v_fma_f64 v[148:149], v[148:149], v[46:47] /*v[302:303]*/, v[76:77] /*v[332:333]*/
	s_set_vgpr_msb 0x44                     ;  msbs: dst=1 src0=0 src1=1 src2=0
	v_fmac_f64_e32 v[76:77] /*v[332:333]*/, v[164:165], v[46:47] /*v[302:303]*/
	s_set_vgpr_msb 5                        ;  msbs: dst=0 src0=1 src1=1 src2=0
	v_mul_f64_e32 v[160:161], v[36:37] /*v[292:293]*/, v[70:71] /*v[326:327]*/
	s_set_vgpr_msb 0x44                     ;  msbs: dst=1 src0=0 src1=1 src2=0
	v_fmac_f64_e32 v[90:91] /*v[346:347]*/, 0, v[64:65] /*v[320:321]*/
	v_fmac_f64_e32 v[38:39] /*v[294:295]*/, 0, v[64:65] /*v[320:321]*/
	;; [unrolled: 1-line block ×5, first 2 shown]
	s_set_vgpr_msb 4                        ;  msbs: dst=0 src0=0 src1=1 src2=0
	v_fmac_f64_e32 v[156:157], 0, v[68:69] /*v[324:325]*/
	v_fmac_f64_e32 v[148:149], 0, v[68:69] /*v[324:325]*/
	s_set_vgpr_msb 0x44                     ;  msbs: dst=1 src0=0 src1=1 src2=0
	v_fmac_f64_e32 v[76:77] /*v[332:333]*/, 0, v[68:69] /*v[324:325]*/
	s_set_vgpr_msb 5                        ;  msbs: dst=0 src0=1 src1=1 src2=0
	s_delay_alu instid0(VALU_DEP_4) | instskip(SKIP_1) | instid1(VALU_DEP_1)
	v_fmac_f64_e32 v[160:161], v[38:39] /*v[294:295]*/, v[74:75] /*v[330:331]*/
	s_set_vgpr_msb 4                        ;  msbs: dst=0 src0=0 src1=1 src2=0
	v_fmac_f64_e32 v[160:161], v[156:157], v[76:77] /*v[332:333]*/
	s_set_vgpr_msb 0                        ;  msbs: dst=0 src0=0 src1=0 src2=0
	s_delay_alu instid0(VALU_DEP_1) | instskip(SKIP_3) | instid1(VALU_DEP_2)
	v_fmac_f64_e32 v[142:143], v[168:169], v[160:161]
	s_set_vgpr_msb 5                        ;  msbs: dst=0 src0=1 src1=1 src2=0
	v_mul_f64_e32 v[160:161], v[32:33] /*v[288:289]*/, v[70:71] /*v[326:327]*/
	s_set_vgpr_msb 64                       ;  msbs: dst=1 src0=0 src1=0 src2=0
	v_mov_b32_e32 v40 /*v296*/, v142
	s_set_vgpr_msb 5                        ;  msbs: dst=0 src0=1 src1=1 src2=0
	s_delay_alu instid0(VALU_DEP_2) | instskip(SKIP_1) | instid1(VALU_DEP_4)
	v_fmac_f64_e32 v[160:161], v[34:35] /*v[290:291]*/, v[74:75] /*v[330:331]*/
	s_set_vgpr_msb 64                       ;  msbs: dst=1 src0=0 src1=0 src2=0
	v_mov_b32_e32 v41 /*v297*/, v143
	s_set_vgpr_msb 4                        ;  msbs: dst=0 src0=0 src1=1 src2=0
	s_delay_alu instid0(VALU_DEP_2) | instskip(SKIP_1) | instid1(VALU_DEP_1)
	v_fmac_f64_e32 v[160:161], v[148:149], v[76:77] /*v[332:333]*/
	s_set_vgpr_msb 0                        ;  msbs: dst=0 src0=0 src1=0 src2=0
	v_fmac_f64_e32 v[122:123], v[168:169], v[160:161]
	s_set_vgpr_msb 5                        ;  msbs: dst=0 src0=1 src1=1 src2=0
	v_mul_f64_e32 v[160:161], v[72:73] /*v[328:329]*/, v[70:71] /*v[326:327]*/
	s_set_vgpr_msb 64                       ;  msbs: dst=1 src0=0 src1=0 src2=0
	s_delay_alu instid0(VALU_DEP_2) | instskip(SKIP_1) | instid1(VALU_DEP_2)
	v_mov_b32_e32 v42 /*v298*/, v122
	s_set_vgpr_msb 5                        ;  msbs: dst=0 src0=1 src1=1 src2=0
	v_fmac_f64_e32 v[160:161], v[78:79] /*v[334:335]*/, v[74:75] /*v[330:331]*/
	s_set_vgpr_msb 64                       ;  msbs: dst=1 src0=0 src1=0 src2=0
	s_delay_alu instid0(VALU_DEP_4) | instskip(SKIP_4) | instid1(VALU_DEP_1)
	v_mov_b32_e32 v43 /*v299*/, v123
	s_set_vgpr_msb 5                        ;  msbs: dst=0 src0=1 src1=1 src2=0
	scratch_store_b128 off, v[40:43] /*v[296:299]*/, off offset:304
	v_fmac_f64_e32 v[160:161], v[80:81] /*v[336:337]*/, v[76:77] /*v[332:333]*/
	s_set_vgpr_msb 0                        ;  msbs: dst=0 src0=0 src1=0 src2=0
	v_fmac_f64_e32 v[102:103], v[168:169], v[160:161]
	s_set_vgpr_msb 5                        ;  msbs: dst=0 src0=1 src1=1 src2=0
	v_mul_f64_e32 v[160:161], v[70:71] /*v[326:327]*/, v[70:71] /*v[326:327]*/
	s_delay_alu instid0(VALU_DEP_1) | instskip(NEXT) | instid1(VALU_DEP_1)
	v_fmac_f64_e32 v[160:161], v[74:75] /*v[330:331]*/, v[74:75] /*v[330:331]*/
	v_fmac_f64_e32 v[160:161], v[76:77] /*v[332:333]*/, v[76:77] /*v[332:333]*/
	s_set_vgpr_msb 0                        ;  msbs: dst=0 src0=0 src1=0 src2=0
	s_delay_alu instid0(VALU_DEP_1)
	v_fmac_f64_e32 v[162:163], v[168:169], v[160:161]
	v_mov_b32_e32 v161, v103
	s_wait_xcnt 0x0
	s_set_vgpr_msb 0x54                     ;  msbs: dst=1 src0=0 src1=1 src2=1
	v_fma_f64 v[42:43] /*v[298:299]*/, v[152:153], v[52:53] /*v[308:309]*/, v[82:83] /*v[338:339]*/
	v_fma_f64 v[40:41] /*v[296:297]*/, v[152:153], v[54:55] /*v[310:311]*/, v[84:85] /*v[340:341]*/
	s_set_vgpr_msb 20                       ;  msbs: dst=0 src0=0 src1=1 src2=1
	v_dual_fma_f64 v[164:165], v[152:153], v[56:57] /*v[312:313]*/, v[86:87] /*v[342:343]*/ :: v_dual_mov_b32 v160, v102
	s_set_vgpr_msb 0x44                     ;  msbs: dst=1 src0=0 src1=1 src2=0
	s_delay_alu instid0(VALU_DEP_3) | instskip(NEXT) | instid1(VALU_DEP_3)
	v_fmac_f64_e32 v[42:43] /*v[298:299]*/, 0, v[66:67] /*v[322:323]*/
	v_fmac_f64_e32 v[40:41] /*v[296:297]*/, 0, v[64:65] /*v[320:321]*/
	s_set_vgpr_msb 5                        ;  msbs: dst=0 src0=1 src1=1 src2=0
	s_delay_alu instid0(VALU_DEP_3) | instskip(NEXT) | instid1(VALU_DEP_3)
	v_fmac_f64_e32 v[164:165], 0, v[68:69] /*v[324:325]*/
	v_mul_f64_e32 v[152:153], v[36:37] /*v[292:293]*/, v[42:43] /*v[298:299]*/
	s_delay_alu instid0(VALU_DEP_1) | instskip(SKIP_1) | instid1(VALU_DEP_1)
	v_fmac_f64_e32 v[152:153], v[38:39] /*v[294:295]*/, v[40:41] /*v[296:297]*/
	s_set_vgpr_msb 0                        ;  msbs: dst=0 src0=0 src1=0 src2=0
	v_fmac_f64_e32 v[152:153], v[156:157], v[164:165]
	s_delay_alu instid0(VALU_DEP_1) | instskip(SKIP_3) | instid1(VALU_DEP_2)
	v_fmac_f64_e32 v[138:139], v[168:169], v[152:153]
	s_set_vgpr_msb 5                        ;  msbs: dst=0 src0=1 src1=1 src2=0
	v_mul_f64_e32 v[152:153], v[32:33] /*v[288:289]*/, v[42:43] /*v[298:299]*/
	s_set_vgpr_msb 64                       ;  msbs: dst=1 src0=0 src1=0 src2=0
	v_mov_b32_e32 v44 /*v300*/, v138
	s_set_vgpr_msb 5                        ;  msbs: dst=0 src0=1 src1=1 src2=0
	s_delay_alu instid0(VALU_DEP_2) | instskip(SKIP_1) | instid1(VALU_DEP_4)
	v_fmac_f64_e32 v[152:153], v[34:35] /*v[290:291]*/, v[40:41] /*v[296:297]*/
	s_set_vgpr_msb 64                       ;  msbs: dst=1 src0=0 src1=0 src2=0
	v_mov_b32_e32 v45 /*v301*/, v139
	s_set_vgpr_msb 0                        ;  msbs: dst=0 src0=0 src1=0 src2=0
	s_delay_alu instid0(VALU_DEP_2) | instskip(NEXT) | instid1(VALU_DEP_1)
	v_fmac_f64_e32 v[152:153], v[148:149], v[164:165]
	v_fmac_f64_e32 v[118:119], v[168:169], v[152:153]
	s_set_vgpr_msb 5                        ;  msbs: dst=0 src0=1 src1=1 src2=0
	v_mul_f64_e32 v[152:153], v[72:73] /*v[328:329]*/, v[42:43] /*v[298:299]*/
	s_set_vgpr_msb 64                       ;  msbs: dst=1 src0=0 src1=0 src2=0
	s_delay_alu instid0(VALU_DEP_2) | instskip(SKIP_1) | instid1(VALU_DEP_2)
	v_mov_b32_e32 v46 /*v302*/, v118
	s_set_vgpr_msb 5                        ;  msbs: dst=0 src0=1 src1=1 src2=0
	v_fmac_f64_e32 v[152:153], v[78:79] /*v[334:335]*/, v[40:41] /*v[296:297]*/
	s_set_vgpr_msb 64                       ;  msbs: dst=1 src0=0 src1=0 src2=0
	s_delay_alu instid0(VALU_DEP_4) | instskip(SKIP_1) | instid1(VALU_DEP_2)
	v_mov_b32_e32 v47 /*v303*/, v119
	s_set_vgpr_msb 1                        ;  msbs: dst=0 src0=1 src1=0 src2=0
	v_fmac_f64_e32 v[152:153], v[80:81] /*v[336:337]*/, v[164:165]
	s_set_vgpr_msb 0                        ;  msbs: dst=0 src0=0 src1=0 src2=0
	s_delay_alu instid0(VALU_DEP_1) | instskip(SKIP_3) | instid1(VALU_DEP_2)
	v_fmac_f64_e32 v[98:99], v[168:169], v[152:153]
	s_set_vgpr_msb 5                        ;  msbs: dst=0 src0=1 src1=1 src2=0
	v_mul_f64_e32 v[152:153], v[70:71] /*v[326:327]*/, v[42:43] /*v[298:299]*/
	s_set_vgpr_msb 64                       ;  msbs: dst=1 src0=0 src1=0 src2=0
	v_mov_b32_e32 v48 /*v304*/, v98
	s_set_vgpr_msb 5                        ;  msbs: dst=0 src0=1 src1=1 src2=0
	s_delay_alu instid0(VALU_DEP_2) | instskip(SKIP_1) | instid1(VALU_DEP_4)
	v_fmac_f64_e32 v[152:153], v[74:75] /*v[330:331]*/, v[40:41] /*v[296:297]*/
	s_set_vgpr_msb 64                       ;  msbs: dst=1 src0=0 src1=0 src2=0
	v_mov_b32_e32 v49 /*v305*/, v99
	s_set_vgpr_msb 1                        ;  msbs: dst=0 src0=1 src1=0 src2=0
	s_delay_alu instid0(VALU_DEP_2) | instskip(SKIP_1) | instid1(VALU_DEP_1)
	v_fmac_f64_e32 v[152:153], v[76:77] /*v[332:333]*/, v[164:165]
	s_set_vgpr_msb 0                        ;  msbs: dst=0 src0=0 src1=0 src2=0
	v_fmac_f64_e32 v[82:83], v[168:169], v[152:153]
	s_set_vgpr_msb 5                        ;  msbs: dst=0 src0=1 src1=1 src2=0
	v_mul_f64_e32 v[152:153], v[36:37] /*v[292:293]*/, v[88:89] /*v[344:345]*/
	s_set_vgpr_msb 64                       ;  msbs: dst=1 src0=0 src1=0 src2=0
	s_delay_alu instid0(VALU_DEP_2) | instskip(SKIP_1) | instid1(VALU_DEP_2)
	v_mov_b32_e32 v50 /*v306*/, v82
	s_set_vgpr_msb 5                        ;  msbs: dst=0 src0=1 src1=1 src2=0
	v_fmac_f64_e32 v[152:153], v[38:39] /*v[294:295]*/, v[90:91] /*v[346:347]*/
	s_set_vgpr_msb 64                       ;  msbs: dst=1 src0=0 src1=0 src2=0
	s_delay_alu instid0(VALU_DEP_4)
	v_mov_b32_e32 v51 /*v307*/, v83
	s_set_vgpr_msb 4                        ;  msbs: dst=0 src0=0 src1=1 src2=0
	s_clause 0x1
	scratch_store_b128 off, v[44:47] /*v[300:303]*/, off offset:496
	scratch_store_b128 off, v[48:51] /*v[304:307]*/, off offset:512
	v_fmac_f64_e32 v[152:153], v[156:157], v[92:93] /*v[348:349]*/
	s_set_vgpr_msb 0                        ;  msbs: dst=0 src0=0 src1=0 src2=0
	s_delay_alu instid0(VALU_DEP_1) | instskip(SKIP_4) | instid1(VALU_DEP_2)
	v_fmac_f64_e32 v[134:135], v[168:169], v[152:153]
	s_set_vgpr_msb 5                        ;  msbs: dst=0 src0=1 src1=1 src2=0
	v_mul_f64_e32 v[152:153], v[32:33] /*v[288:289]*/, v[88:89] /*v[344:345]*/
	s_wait_xcnt 0x1
	s_set_vgpr_msb 64                       ;  msbs: dst=1 src0=0 src1=0 src2=0
	v_mov_b32_e32 v44 /*v300*/, v134
	s_set_vgpr_msb 5                        ;  msbs: dst=0 src0=1 src1=1 src2=0
	s_delay_alu instid0(VALU_DEP_2) | instskip(SKIP_1) | instid1(VALU_DEP_4)
	v_fmac_f64_e32 v[152:153], v[34:35] /*v[290:291]*/, v[90:91] /*v[346:347]*/
	s_set_vgpr_msb 0x54                     ;  msbs: dst=1 src0=0 src1=1 src2=1
	v_dual_fma_f64 v[94:95] /*v[350:351]*/, v[172:173], v[52:53] /*v[308:309]*/, v[82:83] /*v[338:339]*/ :: v_dual_mov_b32 v45 /*v301*/, v135
	v_fma_f64 v[96:97] /*v[352:353]*/, v[172:173], v[54:55] /*v[310:311]*/, v[84:85] /*v[340:341]*/
	s_set_vgpr_msb 4                        ;  msbs: dst=0 src0=0 src1=1 src2=0
	s_delay_alu instid0(VALU_DEP_3) | instskip(SKIP_1) | instid1(VALU_DEP_1)
	v_fmac_f64_e32 v[152:153], v[148:149], v[92:93] /*v[348:349]*/
	s_set_vgpr_msb 0                        ;  msbs: dst=0 src0=0 src1=0 src2=0
	v_fmac_f64_e32 v[114:115], v[168:169], v[152:153]
	s_set_vgpr_msb 5                        ;  msbs: dst=0 src0=1 src1=1 src2=0
	v_mul_f64_e32 v[152:153], v[72:73] /*v[328:329]*/, v[88:89] /*v[344:345]*/
	s_set_vgpr_msb 64                       ;  msbs: dst=1 src0=0 src1=0 src2=0
	s_delay_alu instid0(VALU_DEP_2) | instskip(SKIP_1) | instid1(VALU_DEP_2)
	v_mov_b32_e32 v46 /*v302*/, v114
	s_set_vgpr_msb 5                        ;  msbs: dst=0 src0=1 src1=1 src2=0
	v_fmac_f64_e32 v[152:153], v[78:79] /*v[334:335]*/, v[90:91] /*v[346:347]*/
	s_set_vgpr_msb 64                       ;  msbs: dst=1 src0=0 src1=0 src2=0
	s_delay_alu instid0(VALU_DEP_4)
	v_mov_b32_e32 v47 /*v303*/, v115
	s_set_vgpr_msb 20                       ;  msbs: dst=0 src0=0 src1=1 src2=1
	v_fma_f64 v[170:171], v[0:1], v[56:57] /*v[312:313]*/, v[86:87] /*v[342:343]*/
	s_set_vgpr_msb 0x54                     ;  msbs: dst=1 src0=0 src1=1 src2=1
	v_fma_f64 v[98:99] /*v[354:355]*/, v[172:173], v[56:57] /*v[312:313]*/, v[86:87] /*v[342:343]*/
	v_fmac_f64_e32 v[86:87] /*v[342:343]*/, 0, v[56:57] /*v[312:313]*/
	s_set_vgpr_msb 21                       ;  msbs: dst=0 src0=1 src1=1 src2=1
	v_fmac_f64_e32 v[152:153], v[80:81] /*v[336:337]*/, v[92:93] /*v[348:349]*/
	s_delay_alu instid0(VALU_DEP_4) | instskip(NEXT) | instid1(VALU_DEP_3)
	v_fmac_f64_e32 v[170:171], 0, v[68:69] /*v[324:325]*/
	v_fma_f64 v[172:173], v[6:7] /*v[262:263]*/, v[68:69] /*v[324:325]*/, v[86:87] /*v[342:343]*/
	v_fma_f64 v[174:175], v[8:9] /*v[264:265]*/, v[68:69] /*v[324:325]*/, v[86:87] /*v[342:343]*/
	s_set_vgpr_msb 0x55                     ;  msbs: dst=1 src0=1 src1=1 src2=1
	v_fma_f64 v[104:105] /*v[360:361]*/, v[18:19] /*v[274:275]*/, v[68:69] /*v[324:325]*/, v[86:87] /*v[342:343]*/
	v_fmac_f64_e32 v[86:87] /*v[342:343]*/, v[16:17] /*v[272:273]*/, v[68:69] /*v[324:325]*/
	s_set_vgpr_msb 0                        ;  msbs: dst=0 src0=0 src1=0 src2=0
	v_fmac_f64_e32 v[94:95], v[168:169], v[152:153]
	s_set_vgpr_msb 5                        ;  msbs: dst=0 src0=1 src1=1 src2=0
	v_mul_f64_e32 v[152:153], v[70:71] /*v[326:327]*/, v[88:89] /*v[344:345]*/
	s_wait_xcnt 0x0
	s_set_vgpr_msb 64                       ;  msbs: dst=1 src0=0 src1=0 src2=0
	s_delay_alu instid0(VALU_DEP_2) | instskip(SKIP_1) | instid1(VALU_DEP_2)
	v_mov_b32_e32 v48 /*v304*/, v94
	s_set_vgpr_msb 5                        ;  msbs: dst=0 src0=1 src1=1 src2=0
	v_fmac_f64_e32 v[152:153], v[74:75] /*v[330:331]*/, v[90:91] /*v[346:347]*/
	s_delay_alu instid0(VALU_DEP_1) | instskip(SKIP_1) | instid1(VALU_DEP_1)
	v_fmac_f64_e32 v[152:153], v[76:77] /*v[332:333]*/, v[92:93] /*v[348:349]*/
	s_set_vgpr_msb 0                        ;  msbs: dst=0 src0=0 src1=0 src2=0
	v_fmac_f64_e32 v[78:79], v[168:169], v[152:153]
	s_set_vgpr_msb 64                       ;  msbs: dst=1 src0=0 src1=0 src2=0
	s_delay_alu instid0(VALU_DEP_1) | instskip(NEXT) | instid1(VALU_DEP_2)
	v_dual_mov_b32 v49 /*v305*/, v95 :: v_dual_mov_b32 v50 /*v306*/, v78
	v_mov_b32_e32 v51 /*v307*/, v79
	s_set_vgpr_msb 0x54                     ;  msbs: dst=1 src0=0 src1=1 src2=1
	s_clause 0x1
	scratch_store_b128 off, v[44:47] /*v[300:303]*/, off offset:688
	scratch_store_b128 off, v[48:51] /*v[304:307]*/, off offset:704
	s_wait_xcnt 0x0
	v_fma_f64 v[48:49] /*v[304:305]*/, v[0:1], v[52:53] /*v[308:309]*/, v[82:83] /*v[338:339]*/
	v_fmac_f64_e32 v[82:83] /*v[338:339]*/, 0, v[52:53] /*v[308:309]*/
	v_fma_f64 v[50:51] /*v[306:307]*/, v[0:1], v[54:55] /*v[310:311]*/, v[84:85] /*v[340:341]*/
	v_fmac_f64_e32 v[84:85] /*v[340:341]*/, 0, v[54:55] /*v[310:311]*/
	s_delay_alu instid0(VALU_DEP_4) | instskip(SKIP_1) | instid1(VALU_DEP_4)
	v_fmac_f64_e32 v[48:49] /*v[304:305]*/, 0, v[66:67] /*v[322:323]*/
	s_set_vgpr_msb 0x55                     ;  msbs: dst=1 src0=1 src1=1 src2=1
	v_fma_f64 v[46:47] /*v[302:303]*/, v[6:7] /*v[262:263]*/, v[66:67] /*v[322:323]*/, v[82:83] /*v[338:339]*/
	v_fma_f64 v[100:101] /*v[356:357]*/, v[18:19] /*v[274:275]*/, v[66:67] /*v[322:323]*/, v[82:83] /*v[338:339]*/
	s_delay_alu instid0(VALU_DEP_4) | instskip(SKIP_2) | instid1(VALU_DEP_4)
	v_fma_f64 v[44:45] /*v[300:301]*/, v[6:7] /*v[262:263]*/, v[64:65] /*v[320:321]*/, v[84:85] /*v[340:341]*/
	v_fma_f64 v[102:103] /*v[358:359]*/, v[18:19] /*v[274:275]*/, v[64:65] /*v[320:321]*/, v[84:85] /*v[340:341]*/
	s_set_vgpr_msb 5                        ;  msbs: dst=0 src0=1 src1=1 src2=0
	v_mul_f64_e32 v[0:1], v[36:37] /*v[292:293]*/, v[46:47] /*v[302:303]*/
	s_delay_alu instid0(VALU_DEP_1) | instskip(SKIP_1) | instid1(VALU_DEP_1)
	v_fmac_f64_e32 v[0:1], v[38:39] /*v[294:295]*/, v[44:45] /*v[300:301]*/
	s_set_vgpr_msb 0                        ;  msbs: dst=0 src0=0 src1=0 src2=0
	v_fmac_f64_e32 v[0:1], v[156:157], v[172:173]
	s_delay_alu instid0(VALU_DEP_1) | instskip(SKIP_3) | instid1(VALU_DEP_2)
	v_fmac_f64_e32 v[130:131], v[168:169], v[0:1]
	s_set_vgpr_msb 5                        ;  msbs: dst=0 src0=1 src1=1 src2=0
	v_mul_f64_e32 v[0:1], v[32:33] /*v[288:289]*/, v[46:47] /*v[302:303]*/
	s_set_vgpr_msb 64                       ;  msbs: dst=1 src0=0 src1=0 src2=0
	v_mov_b32_e32 v52 /*v308*/, v130
	s_set_vgpr_msb 5                        ;  msbs: dst=0 src0=1 src1=1 src2=0
	s_delay_alu instid0(VALU_DEP_2) | instskip(SKIP_1) | instid1(VALU_DEP_4)
	v_fmac_f64_e32 v[0:1], v[34:35] /*v[290:291]*/, v[44:45] /*v[300:301]*/
	s_set_vgpr_msb 0x44                     ;  msbs: dst=1 src0=0 src1=1 src2=0
	v_mov_b32_e32 v53 /*v309*/, v131
	v_fmac_f64_e32 v[50:51] /*v[306:307]*/, 0, v[64:65] /*v[320:321]*/
	v_fmac_f64_e32 v[94:95] /*v[350:351]*/, 0, v[66:67] /*v[322:323]*/
	s_set_vgpr_msb 0                        ;  msbs: dst=0 src0=0 src1=0 src2=0
	s_delay_alu instid0(VALU_DEP_4) | instskip(NEXT) | instid1(VALU_DEP_1)
	v_fmac_f64_e32 v[0:1], v[148:149], v[172:173]
	v_fmac_f64_e32 v[110:111], v[168:169], v[0:1]
	s_set_vgpr_msb 5                        ;  msbs: dst=0 src0=1 src1=1 src2=0
	v_mul_f64_e32 v[0:1], v[72:73] /*v[328:329]*/, v[46:47] /*v[302:303]*/
	s_set_vgpr_msb 64                       ;  msbs: dst=1 src0=0 src1=0 src2=0
	s_delay_alu instid0(VALU_DEP_2) | instskip(SKIP_1) | instid1(VALU_DEP_2)
	v_mov_b32_e32 v54 /*v310*/, v110
	s_set_vgpr_msb 5                        ;  msbs: dst=0 src0=1 src1=1 src2=0
	v_fmac_f64_e32 v[0:1], v[78:79] /*v[334:335]*/, v[44:45] /*v[300:301]*/
	s_set_vgpr_msb 0x44                     ;  msbs: dst=1 src0=0 src1=1 src2=0
	s_delay_alu instid0(VALU_DEP_4) | instskip(SKIP_3) | instid1(VALU_DEP_4)
	v_mov_b32_e32 v55 /*v311*/, v111
	v_fmac_f64_e32 v[96:97] /*v[352:353]*/, 0, v[64:65] /*v[320:321]*/
	v_fmac_f64_e32 v[98:99] /*v[354:355]*/, 0, v[68:69] /*v[324:325]*/
	s_set_vgpr_msb 1                        ;  msbs: dst=0 src0=1 src1=0 src2=0
	v_fmac_f64_e32 v[0:1], v[80:81] /*v[336:337]*/, v[172:173]
	s_set_vgpr_msb 0                        ;  msbs: dst=0 src0=0 src1=0 src2=0
	s_delay_alu instid0(VALU_DEP_1) | instskip(SKIP_3) | instid1(VALU_DEP_2)
	v_fmac_f64_e32 v[90:91], v[168:169], v[0:1]
	s_set_vgpr_msb 5                        ;  msbs: dst=0 src0=1 src1=1 src2=0
	v_mul_f64_e32 v[0:1], v[70:71] /*v[326:327]*/, v[46:47] /*v[302:303]*/
	s_set_vgpr_msb 64                       ;  msbs: dst=1 src0=0 src1=0 src2=0
	v_dual_mov_b32 v56 /*v312*/, v90 :: v_dual_mov_b32 v57 /*v313*/, v91
	s_set_vgpr_msb 5                        ;  msbs: dst=0 src0=1 src1=1 src2=0
	s_delay_alu instid0(VALU_DEP_2) | instskip(SKIP_1) | instid1(VALU_DEP_1)
	v_fmac_f64_e32 v[0:1], v[74:75] /*v[330:331]*/, v[44:45] /*v[300:301]*/
	s_set_vgpr_msb 1                        ;  msbs: dst=0 src0=1 src1=0 src2=0
	v_fmac_f64_e32 v[0:1], v[76:77] /*v[332:333]*/, v[172:173]
	s_set_vgpr_msb 0                        ;  msbs: dst=0 src0=0 src1=0 src2=0
	s_delay_alu instid0(VALU_DEP_1) | instskip(SKIP_1) | instid1(VALU_DEP_1)
	v_fmac_f64_e32 v[74:75], v[168:169], v[0:1]
	s_set_vgpr_msb 64                       ;  msbs: dst=1 src0=0 src1=0 src2=0
	v_dual_mov_b32 v58 /*v314*/, v74 :: v_dual_mov_b32 v59 /*v315*/, v75
	s_set_vgpr_msb 0x55                     ;  msbs: dst=1 src0=1 src1=1 src2=1
	s_clause 0x1
	scratch_store_b128 off, v[52:55] /*v[308:311]*/, off offset:880
	scratch_store_b128 off, v[56:59] /*v[312:315]*/, off offset:896
	s_wait_xcnt 0x1
	v_fma_f64 v[52:53] /*v[308:309]*/, v[8:9] /*v[264:265]*/, v[66:67] /*v[322:323]*/, v[82:83] /*v[338:339]*/
	v_fmac_f64_e32 v[82:83] /*v[338:339]*/, v[16:17] /*v[272:273]*/, v[66:67] /*v[322:323]*/
	v_fma_f64 v[54:55] /*v[310:311]*/, v[8:9] /*v[264:265]*/, v[64:65] /*v[320:321]*/, v[84:85] /*v[340:341]*/
	v_fmac_f64_e32 v[84:85] /*v[340:341]*/, v[16:17] /*v[272:273]*/, v[64:65] /*v[320:321]*/
	v_div_fixup_f64 v[66:67] /*v[322:323]*/, v[30:31] /*v[286:287]*/, v[28:29] /*v[284:285]*/, 1.0
	s_set_vgpr_msb 5                        ;  msbs: dst=0 src0=1 src1=1 src2=0
	s_delay_alu instid0(VALU_DEP_4) | instskip(SKIP_1) | instid1(VALU_DEP_2)
	v_mul_f64_e32 v[0:1], v[36:37] /*v[292:293]*/, v[82:83] /*v[338:339]*/
	s_set_vgpr_msb 0x45                     ;  msbs: dst=1 src0=1 src1=1 src2=0
	v_mul_f64_e32 v[26:27] /*v[282:283]*/, v[26:27] /*v[282:283]*/, v[66:67] /*v[322:323]*/
	v_mul_f64_e32 v[24:25] /*v[280:281]*/, v[24:25] /*v[280:281]*/, v[66:67] /*v[322:323]*/
	s_set_vgpr_msb 4                        ;  msbs: dst=0 src0=0 src1=1 src2=0
	v_mul_f64_e32 v[182:183], v[182:183], v[66:67] /*v[322:323]*/
	s_set_vgpr_msb 0x45                     ;  msbs: dst=1 src0=1 src1=1 src2=0
	v_mul_f64_e32 v[22:23] /*v[278:279]*/, v[22:23] /*v[278:279]*/, v[66:67] /*v[322:323]*/
	v_mul_f64_e32 v[118:119] /*v[374:375]*/, v[14:15] /*v[270:271]*/, v[66:67] /*v[322:323]*/
	s_set_vgpr_msb 5                        ;  msbs: dst=0 src0=1 src1=1 src2=0
	v_fmac_f64_e32 v[0:1], v[38:39] /*v[294:295]*/, v[84:85] /*v[340:341]*/
	s_set_vgpr_msb 0x45                     ;  msbs: dst=1 src0=1 src1=1 src2=0
	v_mul_f64_e32 v[28:29] /*v[284:285]*/, 0, v[24:25] /*v[280:281]*/
	v_mul_f64_e32 v[30:31] /*v[286:287]*/, v[4:5] /*v[260:261]*/, v[24:25] /*v[280:281]*/
	v_mul_f64_e32 v[64:65] /*v[320:321]*/, s[6:7], v[22:23] /*v[278:279]*/
	s_set_vgpr_msb 4                        ;  msbs: dst=0 src0=0 src1=1 src2=0
	s_delay_alu instid0(VALU_DEP_4) | instskip(SKIP_1) | instid1(VALU_DEP_3)
	v_fmac_f64_e32 v[0:1], v[156:157], v[86:87] /*v[342:343]*/
	s_set_vgpr_msb 0x55                     ;  msbs: dst=1 src0=1 src1=1 src2=1
	v_fma_f64 v[68:69] /*v[324:325]*/, v[26:27] /*v[282:283]*/, -v[2:3] /*v[258:259]*/, v[30:31] /*v[286:287]*/
	s_set_vgpr_msb 0x41                     ;  msbs: dst=1 src0=1 src1=0 src2=0
	s_delay_alu instid0(VALU_DEP_3) | instskip(SKIP_1) | instid1(VALU_DEP_3)
	v_fmac_f64_e32 v[64:65] /*v[320:321]*/, v[2:3] /*v[258:259]*/, v[182:183]
	s_set_vgpr_msb 0                        ;  msbs: dst=0 src0=0 src1=0 src2=0
	v_fmac_f64_e32 v[126:127], v[168:169], v[0:1]
	s_set_vgpr_msb 5                        ;  msbs: dst=0 src0=1 src1=1 src2=0
	v_mul_f64_e32 v[0:1], v[32:33] /*v[288:289]*/, v[82:83] /*v[338:339]*/
	s_wait_xcnt 0x0
	s_set_vgpr_msb 64                       ;  msbs: dst=1 src0=0 src1=0 src2=0
	s_delay_alu instid0(VALU_DEP_2) | instskip(SKIP_1) | instid1(VALU_DEP_2)
	v_dual_mov_b32 v56 /*v312*/, v126 :: v_dual_mov_b32 v57 /*v313*/, v127
	s_set_vgpr_msb 5                        ;  msbs: dst=0 src0=1 src1=1 src2=0
	v_fmac_f64_e32 v[0:1], v[34:35] /*v[290:291]*/, v[84:85] /*v[340:341]*/
	s_set_vgpr_msb 4                        ;  msbs: dst=0 src0=0 src1=1 src2=0
	s_delay_alu instid0(VALU_DEP_1) | instskip(SKIP_1) | instid1(VALU_DEP_1)
	v_fmac_f64_e32 v[0:1], v[148:149], v[86:87] /*v[342:343]*/
	s_set_vgpr_msb 0                        ;  msbs: dst=0 src0=0 src1=0 src2=0
	v_fmac_f64_e32 v[106:107], v[168:169], v[0:1]
	s_set_vgpr_msb 5                        ;  msbs: dst=0 src0=1 src1=1 src2=0
	v_mul_f64_e32 v[0:1], v[72:73] /*v[328:329]*/, v[82:83] /*v[338:339]*/
	s_set_vgpr_msb 64                       ;  msbs: dst=1 src0=0 src1=0 src2=0
	s_delay_alu instid0(VALU_DEP_2) | instskip(SKIP_1) | instid1(VALU_DEP_2)
	v_dual_mov_b32 v58 /*v314*/, v106 :: v_dual_mov_b32 v59 /*v315*/, v107
	s_set_vgpr_msb 5                        ;  msbs: dst=0 src0=1 src1=1 src2=0
	v_fmac_f64_e32 v[0:1], v[78:79] /*v[334:335]*/, v[84:85] /*v[340:341]*/
	s_delay_alu instid0(VALU_DEP_1) | instskip(SKIP_1) | instid1(VALU_DEP_1)
	v_fmac_f64_e32 v[0:1], v[80:81] /*v[336:337]*/, v[86:87] /*v[342:343]*/
	s_set_vgpr_msb 0                        ;  msbs: dst=0 src0=0 src1=0 src2=0
	v_fmac_f64_e32 v[86:87], v[168:169], v[0:1]
	s_set_vgpr_msb 5                        ;  msbs: dst=0 src0=1 src1=1 src2=0
	v_mul_f64_e32 v[0:1], v[70:71] /*v[326:327]*/, v[82:83] /*v[338:339]*/
	s_set_vgpr_msb 64                       ;  msbs: dst=1 src0=0 src1=0 src2=0
	s_delay_alu instid0(VALU_DEP_2) | instskip(SKIP_1) | instid1(VALU_DEP_2)
	v_dual_mov_b32 v60 /*v316*/, v86 :: v_dual_mov_b32 v61 /*v317*/, v87
	s_set_vgpr_msb 5                        ;  msbs: dst=0 src0=1 src1=1 src2=0
	v_fmac_f64_e32 v[0:1], v[74:75] /*v[330:331]*/, v[84:85] /*v[340:341]*/
	s_delay_alu instid0(VALU_DEP_1) | instskip(SKIP_1) | instid1(VALU_DEP_1)
	v_fmac_f64_e32 v[0:1], v[76:77] /*v[332:333]*/, v[86:87] /*v[342:343]*/
	s_set_vgpr_msb 0                        ;  msbs: dst=0 src0=0 src1=0 src2=0
	v_fmac_f64_e32 v[70:71], v[168:169], v[0:1]
	s_set_vgpr_msb 5                        ;  msbs: dst=0 src0=1 src1=1 src2=0
	v_mul_f64_e32 v[0:1], v[48:49] /*v[304:305]*/, v[88:89] /*v[344:345]*/
	s_set_vgpr_msb 64                       ;  msbs: dst=1 src0=0 src1=0 src2=0
	s_delay_alu instid0(VALU_DEP_2) | instskip(SKIP_1) | instid1(VALU_DEP_2)
	v_dual_mov_b32 v62 /*v318*/, v70 :: v_dual_mov_b32 v63 /*v319*/, v71
	s_set_vgpr_msb 5                        ;  msbs: dst=0 src0=1 src1=1 src2=0
	v_fmac_f64_e32 v[0:1], v[50:51] /*v[306:307]*/, v[90:91] /*v[346:347]*/
	s_clause 0x1
	scratch_store_b128 off, v[56:59] /*v[312:315]*/, off offset:1072
	scratch_store_b128 off, v[60:63] /*v[316:319]*/, off offset:1088
	s_set_vgpr_msb 4                        ;  msbs: dst=0 src0=0 src1=1 src2=0
	v_fmac_f64_e32 v[0:1], v[170:171], v[92:93] /*v[348:349]*/
	s_set_vgpr_msb 0                        ;  msbs: dst=0 src0=0 src1=0 src2=0
	s_delay_alu instid0(VALU_DEP_1) | instskip(SKIP_4) | instid1(VALU_DEP_2)
	v_fmac_f64_e32 v[62:63], v[168:169], v[0:1]
	s_set_vgpr_msb 5                        ;  msbs: dst=0 src0=1 src1=1 src2=0
	v_mul_f64_e32 v[0:1], v[42:43] /*v[298:299]*/, v[88:89] /*v[344:345]*/
	s_wait_xcnt 0x1
	s_set_vgpr_msb 64                       ;  msbs: dst=1 src0=0 src1=0 src2=0
	v_dual_mov_b32 v56 /*v312*/, v62 :: v_dual_mov_b32 v57 /*v313*/, v63
	s_set_vgpr_msb 5                        ;  msbs: dst=0 src0=1 src1=1 src2=0
	s_delay_alu instid0(VALU_DEP_2) | instskip(SKIP_1) | instid1(VALU_DEP_1)
	v_fmac_f64_e32 v[0:1], v[40:41] /*v[296:297]*/, v[90:91] /*v[346:347]*/
	s_set_vgpr_msb 4                        ;  msbs: dst=0 src0=0 src1=1 src2=0
	v_fmac_f64_e32 v[0:1], v[164:165], v[92:93] /*v[348:349]*/
	s_set_vgpr_msb 0                        ;  msbs: dst=0 src0=0 src1=0 src2=0
	s_delay_alu instid0(VALU_DEP_1) | instskip(SKIP_3) | instid1(VALU_DEP_2)
	v_fmac_f64_e32 v[50:51], v[168:169], v[0:1]
	s_set_vgpr_msb 5                        ;  msbs: dst=0 src0=1 src1=1 src2=0
	v_mul_f64_e32 v[0:1], v[94:95] /*v[350:351]*/, v[88:89] /*v[344:345]*/
	s_set_vgpr_msb 64                       ;  msbs: dst=1 src0=0 src1=0 src2=0
	v_dual_mov_b32 v58 /*v314*/, v50 :: v_dual_mov_b32 v59 /*v315*/, v51
	s_set_vgpr_msb 5                        ;  msbs: dst=0 src0=1 src1=1 src2=0
	s_delay_alu instid0(VALU_DEP_2) | instskip(SKIP_3) | instid1(VALU_DEP_1)
	v_fmac_f64_e32 v[0:1], v[96:97] /*v[352:353]*/, v[90:91] /*v[346:347]*/
	scratch_store_b128 off, v[56:59] /*v[312:315]*/, off offset:720
	v_fmac_f64_e32 v[0:1], v[98:99] /*v[354:355]*/, v[92:93] /*v[348:349]*/
	s_set_vgpr_msb 0                        ;  msbs: dst=0 src0=0 src1=0 src2=0
	v_fmac_f64_e32 v[38:39], v[168:169], v[0:1]
	s_set_vgpr_msb 5                        ;  msbs: dst=0 src0=1 src1=1 src2=0
	v_mul_f64_e32 v[0:1], v[88:89] /*v[344:345]*/, v[88:89] /*v[344:345]*/
	s_set_vgpr_msb 0                        ;  msbs: dst=0 src0=0 src1=0 src2=0
	s_delay_alu instid0(VALU_DEP_2) | instskip(SKIP_1) | instid1(VALU_DEP_2)
	v_mov_b32_e32 v152, v38
	s_set_vgpr_msb 5                        ;  msbs: dst=0 src0=1 src1=1 src2=0
	v_fmac_f64_e32 v[0:1], v[90:91] /*v[346:347]*/, v[90:91] /*v[346:347]*/
	s_set_vgpr_msb 0                        ;  msbs: dst=0 src0=0 src1=0 src2=0
	s_delay_alu instid0(VALU_DEP_4) | instskip(SKIP_1) | instid1(VALU_DEP_2)
	v_mov_b32_e32 v153, v39
	s_set_vgpr_msb 5                        ;  msbs: dst=0 src0=1 src1=1 src2=0
	v_fmac_f64_e32 v[0:1], v[92:93] /*v[348:349]*/, v[92:93] /*v[348:349]*/
	s_set_vgpr_msb 0                        ;  msbs: dst=0 src0=0 src1=0 src2=0
	s_delay_alu instid0(VALU_DEP_1) | instskip(SKIP_2) | instid1(VALU_DEP_1)
	v_fmac_f64_e32 v[154:155], v[168:169], v[0:1]
	s_set_vgpr_msb 5                        ;  msbs: dst=0 src0=1 src1=1 src2=0
	v_mul_f64_e32 v[0:1], v[48:49] /*v[304:305]*/, v[46:47] /*v[302:303]*/
	v_fmac_f64_e32 v[0:1], v[50:51] /*v[306:307]*/, v[44:45] /*v[300:301]*/
	s_set_vgpr_msb 0                        ;  msbs: dst=0 src0=0 src1=0 src2=0
	s_delay_alu instid0(VALU_DEP_1) | instskip(NEXT) | instid1(VALU_DEP_1)
	v_fmac_f64_e32 v[0:1], v[170:171], v[172:173]
	v_fmac_f64_e32 v[58:59], v[168:169], v[0:1]
	s_set_vgpr_msb 5                        ;  msbs: dst=0 src0=1 src1=1 src2=0
	v_mul_f64_e32 v[0:1], v[42:43] /*v[298:299]*/, v[46:47] /*v[302:303]*/
	s_wait_xcnt 0x0
	s_set_vgpr_msb 64                       ;  msbs: dst=1 src0=0 src1=0 src2=0
	s_delay_alu instid0(VALU_DEP_2) | instskip(SKIP_1) | instid1(VALU_DEP_2)
	v_dual_mov_b32 v56 /*v312*/, v58 :: v_dual_mov_b32 v57 /*v313*/, v59
	s_set_vgpr_msb 5                        ;  msbs: dst=0 src0=1 src1=1 src2=0
	v_fmac_f64_e32 v[0:1], v[40:41] /*v[296:297]*/, v[44:45] /*v[300:301]*/
	s_set_vgpr_msb 0                        ;  msbs: dst=0 src0=0 src1=0 src2=0
	s_delay_alu instid0(VALU_DEP_1) | instskip(NEXT) | instid1(VALU_DEP_1)
	v_fmac_f64_e32 v[0:1], v[164:165], v[172:173]
	v_fmac_f64_e32 v[46:47], v[168:169], v[0:1]
	s_set_vgpr_msb 5                        ;  msbs: dst=0 src0=1 src1=1 src2=0
	v_mul_f64_e32 v[0:1], v[94:95] /*v[350:351]*/, v[46:47] /*v[302:303]*/
	s_set_vgpr_msb 64                       ;  msbs: dst=1 src0=0 src1=0 src2=0
	s_delay_alu instid0(VALU_DEP_2) | instskip(SKIP_1) | instid1(VALU_DEP_2)
	v_dual_mov_b32 v58 /*v314*/, v46 :: v_dual_mov_b32 v59 /*v315*/, v47
	s_set_vgpr_msb 5                        ;  msbs: dst=0 src0=1 src1=1 src2=0
	v_fmac_f64_e32 v[0:1], v[96:97] /*v[352:353]*/, v[44:45] /*v[300:301]*/
	s_set_vgpr_msb 1                        ;  msbs: dst=0 src0=1 src1=0 src2=0
	s_delay_alu instid0(VALU_DEP_1) | instskip(SKIP_1) | instid1(VALU_DEP_1)
	v_fmac_f64_e32 v[0:1], v[98:99] /*v[354:355]*/, v[172:173]
	s_set_vgpr_msb 0                        ;  msbs: dst=0 src0=0 src1=0 src2=0
	v_fmac_f64_e32 v[34:35], v[168:169], v[0:1]
	s_set_vgpr_msb 5                        ;  msbs: dst=0 src0=1 src1=1 src2=0
	v_mul_f64_e32 v[0:1], v[88:89] /*v[344:345]*/, v[46:47] /*v[302:303]*/
	s_set_vgpr_msb 64                       ;  msbs: dst=1 src0=0 src1=0 src2=0
	s_delay_alu instid0(VALU_DEP_2) | instskip(SKIP_1) | instid1(VALU_DEP_2)
	v_dual_mov_b32 v60 /*v316*/, v34 :: v_dual_mov_b32 v61 /*v317*/, v35
	s_set_vgpr_msb 5                        ;  msbs: dst=0 src0=1 src1=1 src2=0
	v_fmac_f64_e32 v[0:1], v[90:91] /*v[346:347]*/, v[44:45] /*v[300:301]*/
	s_set_vgpr_msb 1                        ;  msbs: dst=0 src0=1 src1=0 src2=0
	s_delay_alu instid0(VALU_DEP_1) | instskip(SKIP_1) | instid1(VALU_DEP_1)
	v_fmac_f64_e32 v[0:1], v[92:93] /*v[348:349]*/, v[172:173]
	s_set_vgpr_msb 0                        ;  msbs: dst=0 src0=0 src1=0 src2=0
	v_fmac_f64_e32 v[26:27], v[168:169], v[0:1]
	s_set_vgpr_msb 5                        ;  msbs: dst=0 src0=1 src1=1 src2=0
	v_mul_f64_e32 v[0:1], v[48:49] /*v[304:305]*/, v[82:83] /*v[338:339]*/
	s_set_vgpr_msb 64                       ;  msbs: dst=1 src0=0 src1=0 src2=0
	s_delay_alu instid0(VALU_DEP_2) | instskip(SKIP_1) | instid1(VALU_DEP_2)
	v_dual_mov_b32 v62 /*v318*/, v26 :: v_dual_mov_b32 v63 /*v319*/, v27
	s_set_vgpr_msb 5                        ;  msbs: dst=0 src0=1 src1=1 src2=0
	v_fmac_f64_e32 v[0:1], v[50:51] /*v[306:307]*/, v[84:85] /*v[340:341]*/
	s_clause 0x1
	scratch_store_b128 off, v[56:59] /*v[312:315]*/, off offset:912
	scratch_store_b128 off, v[60:63] /*v[316:319]*/, off offset:928
	s_set_vgpr_msb 4                        ;  msbs: dst=0 src0=0 src1=1 src2=0
	v_fmac_f64_e32 v[0:1], v[170:171], v[86:87] /*v[342:343]*/
	s_set_vgpr_msb 0                        ;  msbs: dst=0 src0=0 src1=0 src2=0
	s_delay_alu instid0(VALU_DEP_1) | instskip(SKIP_4) | instid1(VALU_DEP_2)
	v_fmac_f64_e32 v[54:55], v[168:169], v[0:1]
	s_set_vgpr_msb 5                        ;  msbs: dst=0 src0=1 src1=1 src2=0
	v_mul_f64_e32 v[0:1], v[42:43] /*v[298:299]*/, v[82:83] /*v[338:339]*/
	s_wait_xcnt 0x1
	s_set_vgpr_msb 64                       ;  msbs: dst=1 src0=0 src1=0 src2=0
	v_dual_mov_b32 v56 /*v312*/, v54 :: v_dual_mov_b32 v57 /*v313*/, v55
	s_set_vgpr_msb 5                        ;  msbs: dst=0 src0=1 src1=1 src2=0
	s_delay_alu instid0(VALU_DEP_2) | instskip(SKIP_1) | instid1(VALU_DEP_1)
	v_fmac_f64_e32 v[0:1], v[40:41] /*v[296:297]*/, v[84:85] /*v[340:341]*/
	s_set_vgpr_msb 4                        ;  msbs: dst=0 src0=0 src1=1 src2=0
	v_fmac_f64_e32 v[0:1], v[164:165], v[86:87] /*v[342:343]*/
	s_set_vgpr_msb 0                        ;  msbs: dst=0 src0=0 src1=0 src2=0
	s_delay_alu instid0(VALU_DEP_1) | instskip(SKIP_3) | instid1(VALU_DEP_2)
	v_fmac_f64_e32 v[42:43], v[168:169], v[0:1]
	s_set_vgpr_msb 5                        ;  msbs: dst=0 src0=1 src1=1 src2=0
	v_mul_f64_e32 v[0:1], v[94:95] /*v[350:351]*/, v[82:83] /*v[338:339]*/
	s_set_vgpr_msb 64                       ;  msbs: dst=1 src0=0 src1=0 src2=0
	v_dual_mov_b32 v58 /*v314*/, v42 :: v_dual_mov_b32 v59 /*v315*/, v43
	s_set_vgpr_msb 5                        ;  msbs: dst=0 src0=1 src1=1 src2=0
	s_delay_alu instid0(VALU_DEP_2) | instskip(NEXT) | instid1(VALU_DEP_1)
	v_fmac_f64_e32 v[0:1], v[96:97] /*v[352:353]*/, v[84:85] /*v[340:341]*/
	v_fmac_f64_e32 v[0:1], v[98:99] /*v[354:355]*/, v[86:87] /*v[342:343]*/
	s_set_vgpr_msb 0                        ;  msbs: dst=0 src0=0 src1=0 src2=0
	s_delay_alu instid0(VALU_DEP_1) | instskip(SKIP_4) | instid1(VALU_DEP_2)
	v_fmac_f64_e32 v[30:31], v[168:169], v[0:1]
	s_set_vgpr_msb 5                        ;  msbs: dst=0 src0=1 src1=1 src2=0
	v_mul_f64_e32 v[0:1], v[88:89] /*v[344:345]*/, v[82:83] /*v[338:339]*/
	s_wait_xcnt 0x0
	s_set_vgpr_msb 64                       ;  msbs: dst=1 src0=0 src1=0 src2=0
	v_dual_mov_b32 v60 /*v316*/, v30 :: v_dual_mov_b32 v61 /*v317*/, v31
	s_set_vgpr_msb 5                        ;  msbs: dst=0 src0=1 src1=1 src2=0
	s_delay_alu instid0(VALU_DEP_2) | instskip(NEXT) | instid1(VALU_DEP_1)
	v_fmac_f64_e32 v[0:1], v[90:91] /*v[346:347]*/, v[84:85] /*v[340:341]*/
	v_fmac_f64_e32 v[0:1], v[92:93] /*v[348:349]*/, v[86:87] /*v[342:343]*/
	s_set_vgpr_msb 0                        ;  msbs: dst=0 src0=0 src1=0 src2=0
	s_delay_alu instid0(VALU_DEP_1) | instskip(SKIP_3) | instid1(VALU_DEP_2)
	v_fmac_f64_e32 v[22:23], v[168:169], v[0:1]
	s_set_vgpr_msb 5                        ;  msbs: dst=0 src0=1 src1=1 src2=0
	v_mul_f64_e32 v[0:1], v[52:53] /*v[308:309]*/, v[82:83] /*v[338:339]*/
	s_set_vgpr_msb 64                       ;  msbs: dst=1 src0=0 src1=0 src2=0
	v_dual_mov_b32 v62 /*v318*/, v22 :: v_dual_mov_b32 v63 /*v319*/, v23
	s_set_vgpr_msb 0x45                     ;  msbs: dst=1 src0=1 src1=1 src2=0
	s_clause 0x1
	scratch_store_b128 off, v[56:59] /*v[312:315]*/, off offset:1104
	scratch_store_b128 off, v[60:63] /*v[316:319]*/, off offset:1120
	s_wait_xcnt 0x1
	v_mul_f64_e32 v[56:57] /*v[312:313]*/, v[46:47] /*v[302:303]*/, v[82:83] /*v[338:339]*/
	v_mul_f64_e32 v[58:59] /*v[314:315]*/, v[100:101] /*v[356:357]*/, v[82:83] /*v[338:339]*/
	s_set_vgpr_msb 5                        ;  msbs: dst=0 src0=1 src1=1 src2=0
	v_fmac_f64_e32 v[0:1], v[54:55] /*v[310:311]*/, v[84:85] /*v[340:341]*/
	s_wait_xcnt 0x0
	s_set_vgpr_msb 0x55                     ;  msbs: dst=1 src0=1 src1=1 src2=1
	v_mul_f64_e32 v[60:61] /*v[316:317]*/, v[82:83] /*v[338:339]*/, v[82:83] /*v[338:339]*/
	v_fma_f64 v[82:83] /*v[338:339]*/, v[2:3] /*v[258:259]*/, v[26:27] /*v[282:283]*/, v[28:29] /*v[284:285]*/
	v_fmac_f64_e32 v[56:57] /*v[312:313]*/, v[44:45] /*v[300:301]*/, v[84:85] /*v[340:341]*/
	v_fmac_f64_e32 v[58:59] /*v[314:315]*/, v[102:103] /*v[358:359]*/, v[84:85] /*v[340:341]*/
	s_set_vgpr_msb 4                        ;  msbs: dst=0 src0=0 src1=1 src2=0
	v_fmac_f64_e32 v[0:1], v[174:175], v[86:87] /*v[342:343]*/
	s_set_vgpr_msb 0x45                     ;  msbs: dst=1 src0=1 src1=1 src2=0
	v_fmac_f64_e32 v[60:61] /*v[316:317]*/, v[84:85] /*v[340:341]*/, v[84:85] /*v[340:341]*/
	s_set_vgpr_msb 0x54                     ;  msbs: dst=1 src0=0 src1=1 src2=1
	v_fma_f64 v[84:85] /*v[340:341]*/, s[2:3], v[26:27] /*v[282:283]*/, v[28:29] /*v[284:285]*/
	v_fmac_f64_e32 v[56:57] /*v[312:313]*/, v[172:173], v[86:87] /*v[342:343]*/
	s_set_vgpr_msb 0x45                     ;  msbs: dst=1 src0=1 src1=1 src2=0
	v_fmac_f64_e32 v[58:59] /*v[314:315]*/, v[104:105] /*v[360:361]*/, v[86:87] /*v[342:343]*/
	s_set_vgpr_msb 0                        ;  msbs: dst=0 src0=0 src1=0 src2=0
	v_fmac_f64_e32 v[14:15], v[168:169], v[0:1]
	s_set_vgpr_msb 0x45                     ;  msbs: dst=1 src0=1 src1=1 src2=0
	v_fmac_f64_e32 v[60:61] /*v[316:317]*/, v[86:87] /*v[342:343]*/, v[86:87] /*v[342:343]*/
	s_set_vgpr_msb 4                        ;  msbs: dst=0 src0=0 src1=1 src2=0
	s_delay_alu instid0(VALU_DEP_4) | instskip(NEXT) | instid1(VALU_DEP_4)
	v_fmac_f64_e32 v[10:11], v[168:169], v[56:57] /*v[312:313]*/
	v_fmac_f64_e32 v[6:7], v[168:169], v[58:59] /*v[314:315]*/
	s_set_vgpr_msb 64                       ;  msbs: dst=1 src0=0 src1=0 src2=0
	s_delay_alu instid0(VALU_DEP_4) | instskip(SKIP_1) | instid1(VALU_DEP_4)
	v_dual_mov_b32 v56 /*v312*/, v14 :: v_dual_mov_b32 v57 /*v313*/, v15
	s_set_vgpr_msb 4                        ;  msbs: dst=0 src0=0 src1=1 src2=0
	v_fmac_f64_e32 v[2:3], v[168:169], v[60:61] /*v[316:317]*/
	s_set_vgpr_msb 64                       ;  msbs: dst=1 src0=0 src1=0 src2=0
	s_delay_alu instid0(VALU_DEP_4) | instskip(SKIP_1) | instid1(VALU_DEP_4)
	v_dual_mov_b32 v58 /*v314*/, v10 :: v_dual_mov_b32 v59 /*v315*/, v11
	s_set_vgpr_msb 4                        ;  msbs: dst=0 src0=0 src1=1 src2=0
	v_dual_mov_b32 v0, v6 :: v_dual_mov_b32 v1, v7
	scratch_store_b128 off, v[56:59] /*v[312:315]*/, off offset:1136
	s_wait_xcnt 0x0
	s_set_vgpr_msb 0x45                     ;  msbs: dst=1 src0=1 src1=1 src2=0
	v_mul_f64_e32 v[56:57] /*v[312:313]*/, v[36:37] /*v[292:293]*/, v[72:73] /*v[328:329]*/
	s_delay_alu instid0(VALU_DEP_1) | instskip(SKIP_1) | instid1(VALU_DEP_1)
	v_fmac_f64_e32 v[56:57] /*v[312:313]*/, v[38:39] /*v[294:295]*/, v[78:79] /*v[334:335]*/
	s_set_vgpr_msb 0x44                     ;  msbs: dst=1 src0=0 src1=1 src2=0
	v_fmac_f64_e32 v[56:57] /*v[312:313]*/, v[156:157], v[80:81] /*v[336:337]*/
	s_set_vgpr_msb 4                        ;  msbs: dst=0 src0=0 src1=1 src2=0
	s_delay_alu instid0(VALU_DEP_1) | instskip(SKIP_2) | instid1(VALU_DEP_1)
	v_fmac_f64_e32 v[140:141], v[168:169], v[56:57] /*v[312:313]*/
	s_set_vgpr_msb 0x45                     ;  msbs: dst=1 src0=1 src1=1 src2=0
	v_mul_f64_e32 v[56:57] /*v[312:313]*/, v[32:33] /*v[288:289]*/, v[72:73] /*v[328:329]*/
	v_fmac_f64_e32 v[56:57] /*v[312:313]*/, v[34:35] /*v[290:291]*/, v[78:79] /*v[334:335]*/
	s_set_vgpr_msb 0x44                     ;  msbs: dst=1 src0=0 src1=1 src2=0
	s_delay_alu instid0(VALU_DEP_1) | instskip(SKIP_1) | instid1(VALU_DEP_1)
	v_fmac_f64_e32 v[56:57] /*v[312:313]*/, v[148:149], v[80:81] /*v[336:337]*/
	s_set_vgpr_msb 4                        ;  msbs: dst=0 src0=0 src1=1 src2=0
	v_fmac_f64_e32 v[120:121], v[168:169], v[56:57] /*v[312:313]*/
	s_set_vgpr_msb 0x45                     ;  msbs: dst=1 src0=1 src1=1 src2=0
	v_mul_f64_e32 v[56:57] /*v[312:313]*/, v[72:73] /*v[328:329]*/, v[72:73] /*v[328:329]*/
	s_delay_alu instid0(VALU_DEP_1) | instskip(NEXT) | instid1(VALU_DEP_1)
	v_fmac_f64_e32 v[56:57] /*v[312:313]*/, v[78:79] /*v[334:335]*/, v[78:79] /*v[334:335]*/
	v_fmac_f64_e32 v[56:57] /*v[312:313]*/, v[80:81] /*v[336:337]*/, v[80:81] /*v[336:337]*/
	s_set_vgpr_msb 4                        ;  msbs: dst=0 src0=0 src1=1 src2=0
	s_delay_alu instid0(VALU_DEP_1)
	v_fmac_f64_e32 v[100:101], v[168:169], v[56:57] /*v[312:313]*/
	s_set_vgpr_msb 64                       ;  msbs: dst=1 src0=0 src1=0 src2=0
	v_mov_b64_e32 v[58:59] /*v[314:315]*/, v[142:143]
	v_mov_b64_e32 v[56:57] /*v[312:313]*/, v[140:141]
	v_dual_mov_b32 v58 /*v314*/, v120 :: v_dual_mov_b32 v59 /*v315*/, v121
	s_set_vgpr_msb 0x45                     ;  msbs: dst=1 src0=1 src1=1 src2=0
	scratch_store_b128 off, v[56:59] /*v[312:315]*/, off offset:208
	s_wait_xcnt 0x0
	v_mul_f64_e32 v[56:57] /*v[312:313]*/, v[36:37] /*v[292:293]*/, v[48:49] /*v[304:305]*/
	s_delay_alu instid0(VALU_DEP_1) | instskip(SKIP_1) | instid1(VALU_DEP_1)
	v_fmac_f64_e32 v[56:57] /*v[312:313]*/, v[38:39] /*v[294:295]*/, v[50:51] /*v[306:307]*/
	s_set_vgpr_msb 64                       ;  msbs: dst=1 src0=0 src1=0 src2=0
	v_fmac_f64_e32 v[56:57] /*v[312:313]*/, v[156:157], v[170:171]
	s_set_vgpr_msb 4                        ;  msbs: dst=0 src0=0 src1=1 src2=0
	s_delay_alu instid0(VALU_DEP_1) | instskip(SKIP_2) | instid1(VALU_DEP_1)
	v_fmac_f64_e32 v[136:137], v[168:169], v[56:57] /*v[312:313]*/
	s_set_vgpr_msb 0x45                     ;  msbs: dst=1 src0=1 src1=1 src2=0
	v_mul_f64_e32 v[56:57] /*v[312:313]*/, v[32:33] /*v[288:289]*/, v[48:49] /*v[304:305]*/
	v_fmac_f64_e32 v[56:57] /*v[312:313]*/, v[34:35] /*v[290:291]*/, v[50:51] /*v[306:307]*/
	s_set_vgpr_msb 64                       ;  msbs: dst=1 src0=0 src1=0 src2=0
	s_delay_alu instid0(VALU_DEP_1) | instskip(SKIP_1) | instid1(VALU_DEP_1)
	v_fmac_f64_e32 v[56:57] /*v[312:313]*/, v[148:149], v[170:171]
	s_set_vgpr_msb 4                        ;  msbs: dst=0 src0=0 src1=1 src2=0
	v_fmac_f64_e32 v[116:117], v[168:169], v[56:57] /*v[312:313]*/
	s_set_vgpr_msb 0x45                     ;  msbs: dst=1 src0=1 src1=1 src2=0
	v_mul_f64_e32 v[56:57] /*v[312:313]*/, v[72:73] /*v[328:329]*/, v[48:49] /*v[304:305]*/
	s_delay_alu instid0(VALU_DEP_1) | instskip(SKIP_1) | instid1(VALU_DEP_1)
	v_fmac_f64_e32 v[56:57] /*v[312:313]*/, v[78:79] /*v[334:335]*/, v[50:51] /*v[306:307]*/
	s_set_vgpr_msb 0x41                     ;  msbs: dst=1 src0=1 src1=0 src2=0
	v_fmac_f64_e32 v[56:57] /*v[312:313]*/, v[80:81] /*v[336:337]*/, v[170:171]
	s_set_vgpr_msb 4                        ;  msbs: dst=0 src0=0 src1=1 src2=0
	s_delay_alu instid0(VALU_DEP_1) | instskip(SKIP_4) | instid1(VALU_DEP_3)
	v_fmac_f64_e32 v[96:97], v[168:169], v[56:57] /*v[312:313]*/
	s_set_vgpr_msb 0x45                     ;  msbs: dst=1 src0=1 src1=1 src2=0
	v_mul_f64_e32 v[56:57] /*v[312:313]*/, v[70:71] /*v[326:327]*/, v[48:49] /*v[304:305]*/
	s_set_vgpr_msb 64                       ;  msbs: dst=1 src0=0 src1=0 src2=0
	v_mov_b64_e32 v[62:63] /*v[318:319]*/, v[98:99]
	v_mov_b64_e32 v[60:61] /*v[316:317]*/, v[96:97]
	s_set_vgpr_msb 0x45                     ;  msbs: dst=1 src0=1 src1=1 src2=0
	s_delay_alu instid0(VALU_DEP_3) | instskip(SKIP_1) | instid1(VALU_DEP_1)
	v_fmac_f64_e32 v[56:57] /*v[312:313]*/, v[74:75] /*v[330:331]*/, v[50:51] /*v[306:307]*/
	s_set_vgpr_msb 0x41                     ;  msbs: dst=1 src0=1 src1=0 src2=0
	v_fmac_f64_e32 v[56:57] /*v[312:313]*/, v[76:77] /*v[332:333]*/, v[170:171]
	s_set_vgpr_msb 4                        ;  msbs: dst=0 src0=0 src1=1 src2=0
	s_delay_alu instid0(VALU_DEP_1) | instskip(SKIP_4) | instid1(VALU_DEP_4)
	v_fmac_f64_e32 v[80:81], v[168:169], v[56:57] /*v[312:313]*/
	s_set_vgpr_msb 64                       ;  msbs: dst=1 src0=0 src1=0 src2=0
	v_mov_b64_e32 v[58:59] /*v[314:315]*/, v[138:139]
	v_mov_b64_e32 v[56:57] /*v[312:313]*/, v[136:137]
	v_dual_mov_b32 v58 /*v314*/, v116 :: v_dual_mov_b32 v59 /*v315*/, v117
	v_dual_mov_b32 v62 /*v318*/, v80 :: v_dual_mov_b32 v63 /*v319*/, v81
	s_set_vgpr_msb 0x45                     ;  msbs: dst=1 src0=1 src1=1 src2=0
	s_clause 0x1
	scratch_store_b128 off, v[56:59] /*v[312:315]*/, off offset:400
	scratch_store_b128 off, v[60:63] /*v[316:319]*/, off offset:416
	s_wait_xcnt 0x1
	v_mul_f64_e32 v[56:57] /*v[312:313]*/, v[36:37] /*v[292:293]*/, v[94:95] /*v[350:351]*/
	s_delay_alu instid0(VALU_DEP_1) | instskip(SKIP_1) | instid1(VALU_DEP_1)
	v_fmac_f64_e32 v[56:57] /*v[312:313]*/, v[38:39] /*v[294:295]*/, v[96:97] /*v[352:353]*/
	s_set_vgpr_msb 0x44                     ;  msbs: dst=1 src0=0 src1=1 src2=0
	v_fmac_f64_e32 v[56:57] /*v[312:313]*/, v[156:157], v[98:99] /*v[354:355]*/
	s_set_vgpr_msb 4                        ;  msbs: dst=0 src0=0 src1=1 src2=0
	s_delay_alu instid0(VALU_DEP_1) | instskip(SKIP_2) | instid1(VALU_DEP_1)
	v_fmac_f64_e32 v[132:133], v[168:169], v[56:57] /*v[312:313]*/
	s_set_vgpr_msb 0x45                     ;  msbs: dst=1 src0=1 src1=1 src2=0
	v_mul_f64_e32 v[56:57] /*v[312:313]*/, v[32:33] /*v[288:289]*/, v[94:95] /*v[350:351]*/
	v_fmac_f64_e32 v[56:57] /*v[312:313]*/, v[34:35] /*v[290:291]*/, v[96:97] /*v[352:353]*/
	s_set_vgpr_msb 0x44                     ;  msbs: dst=1 src0=0 src1=1 src2=0
	s_delay_alu instid0(VALU_DEP_1) | instskip(SKIP_1) | instid1(VALU_DEP_1)
	v_fmac_f64_e32 v[56:57] /*v[312:313]*/, v[148:149], v[98:99] /*v[354:355]*/
	s_set_vgpr_msb 4                        ;  msbs: dst=0 src0=0 src1=1 src2=0
	v_fmac_f64_e32 v[112:113], v[168:169], v[56:57] /*v[312:313]*/
	s_set_vgpr_msb 0x45                     ;  msbs: dst=1 src0=1 src1=1 src2=0
	v_mul_f64_e32 v[56:57] /*v[312:313]*/, v[72:73] /*v[328:329]*/, v[94:95] /*v[350:351]*/
	s_delay_alu instid0(VALU_DEP_1) | instskip(NEXT) | instid1(VALU_DEP_1)
	v_fmac_f64_e32 v[56:57] /*v[312:313]*/, v[78:79] /*v[334:335]*/, v[96:97] /*v[352:353]*/
	v_fmac_f64_e32 v[56:57] /*v[312:313]*/, v[80:81] /*v[336:337]*/, v[98:99] /*v[354:355]*/
	s_set_vgpr_msb 4                        ;  msbs: dst=0 src0=0 src1=1 src2=0
	s_delay_alu instid0(VALU_DEP_1)
	v_fmac_f64_e32 v[92:93], v[168:169], v[56:57] /*v[312:313]*/
	s_set_vgpr_msb 0x45                     ;  msbs: dst=1 src0=1 src1=1 src2=0
	v_mul_f64_e32 v[56:57] /*v[312:313]*/, v[70:71] /*v[326:327]*/, v[94:95] /*v[350:351]*/
	s_wait_xcnt 0x0
	s_set_vgpr_msb 64                       ;  msbs: dst=1 src0=0 src1=0 src2=0
	v_mov_b64_e32 v[62:63] /*v[318:319]*/, v[94:95]
	s_delay_alu instid0(VALU_DEP_3) | instskip(SKIP_1) | instid1(VALU_DEP_3)
	v_mov_b64_e32 v[60:61] /*v[316:317]*/, v[92:93]
	s_set_vgpr_msb 0x45                     ;  msbs: dst=1 src0=1 src1=1 src2=0
	v_fmac_f64_e32 v[56:57] /*v[312:313]*/, v[74:75] /*v[330:331]*/, v[96:97] /*v[352:353]*/
	s_delay_alu instid0(VALU_DEP_1) | instskip(SKIP_1) | instid1(VALU_DEP_1)
	v_fmac_f64_e32 v[56:57] /*v[312:313]*/, v[76:77] /*v[332:333]*/, v[98:99] /*v[354:355]*/
	s_set_vgpr_msb 4                        ;  msbs: dst=0 src0=0 src1=1 src2=0
	v_fmac_f64_e32 v[76:77], v[168:169], v[56:57] /*v[312:313]*/
	s_set_vgpr_msb 64                       ;  msbs: dst=1 src0=0 src1=0 src2=0
	v_mov_b64_e32 v[58:59] /*v[314:315]*/, v[134:135]
	v_mov_b64_e32 v[56:57] /*v[312:313]*/, v[132:133]
	v_dual_mov_b32 v58 /*v314*/, v112 :: v_dual_mov_b32 v59 /*v315*/, v113
	s_delay_alu instid0(VALU_DEP_4)
	v_dual_mov_b32 v62 /*v318*/, v76 :: v_dual_mov_b32 v63 /*v319*/, v77
	s_set_vgpr_msb 0x45                     ;  msbs: dst=1 src0=1 src1=1 src2=0
	s_clause 0x1
	scratch_store_b128 off, v[56:59] /*v[312:315]*/, off offset:592
	scratch_store_b128 off, v[60:63] /*v[316:319]*/, off offset:608
	s_wait_xcnt 0x1
	v_mul_f64_e32 v[56:57] /*v[312:313]*/, v[36:37] /*v[292:293]*/, v[52:53] /*v[308:309]*/
	s_delay_alu instid0(VALU_DEP_1) | instskip(SKIP_1) | instid1(VALU_DEP_1)
	v_fmac_f64_e32 v[56:57] /*v[312:313]*/, v[38:39] /*v[294:295]*/, v[54:55] /*v[310:311]*/
	s_set_vgpr_msb 64                       ;  msbs: dst=1 src0=0 src1=0 src2=0
	v_fmac_f64_e32 v[56:57] /*v[312:313]*/, v[156:157], v[174:175]
	s_set_vgpr_msb 4                        ;  msbs: dst=0 src0=0 src1=1 src2=0
	s_delay_alu instid0(VALU_DEP_1) | instskip(SKIP_2) | instid1(VALU_DEP_1)
	v_fmac_f64_e32 v[128:129], v[168:169], v[56:57] /*v[312:313]*/
	s_set_vgpr_msb 0x45                     ;  msbs: dst=1 src0=1 src1=1 src2=0
	v_mul_f64_e32 v[56:57] /*v[312:313]*/, v[32:33] /*v[288:289]*/, v[52:53] /*v[308:309]*/
	v_fmac_f64_e32 v[56:57] /*v[312:313]*/, v[34:35] /*v[290:291]*/, v[54:55] /*v[310:311]*/
	s_set_vgpr_msb 64                       ;  msbs: dst=1 src0=0 src1=0 src2=0
	s_delay_alu instid0(VALU_DEP_1) | instskip(SKIP_1) | instid1(VALU_DEP_1)
	v_fmac_f64_e32 v[56:57] /*v[312:313]*/, v[148:149], v[174:175]
	s_set_vgpr_msb 4                        ;  msbs: dst=0 src0=0 src1=1 src2=0
	v_fmac_f64_e32 v[108:109], v[168:169], v[56:57] /*v[312:313]*/
	s_set_vgpr_msb 0x45                     ;  msbs: dst=1 src0=1 src1=1 src2=0
	v_mul_f64_e32 v[56:57] /*v[312:313]*/, v[72:73] /*v[328:329]*/, v[52:53] /*v[308:309]*/
	s_delay_alu instid0(VALU_DEP_1) | instskip(SKIP_1) | instid1(VALU_DEP_1)
	v_fmac_f64_e32 v[56:57] /*v[312:313]*/, v[78:79] /*v[334:335]*/, v[54:55] /*v[310:311]*/
	s_set_vgpr_msb 0x41                     ;  msbs: dst=1 src0=1 src1=0 src2=0
	v_fmac_f64_e32 v[56:57] /*v[312:313]*/, v[80:81] /*v[336:337]*/, v[174:175]
	s_set_vgpr_msb 4                        ;  msbs: dst=0 src0=0 src1=1 src2=0
	s_delay_alu instid0(VALU_DEP_1)
	v_fmac_f64_e32 v[88:89], v[168:169], v[56:57] /*v[312:313]*/
	s_set_vgpr_msb 0x45                     ;  msbs: dst=1 src0=1 src1=1 src2=0
	v_mul_f64_e32 v[56:57] /*v[312:313]*/, v[70:71] /*v[326:327]*/, v[52:53] /*v[308:309]*/
	s_wait_xcnt 0x0
	s_set_vgpr_msb 64                       ;  msbs: dst=1 src0=0 src1=0 src2=0
	v_mov_b64_e32 v[62:63] /*v[318:319]*/, v[90:91]
	s_delay_alu instid0(VALU_DEP_3) | instskip(SKIP_1) | instid1(VALU_DEP_3)
	v_mov_b64_e32 v[60:61] /*v[316:317]*/, v[88:89]
	s_set_vgpr_msb 0x45                     ;  msbs: dst=1 src0=1 src1=1 src2=0
	v_fmac_f64_e32 v[56:57] /*v[312:313]*/, v[74:75] /*v[330:331]*/, v[54:55] /*v[310:311]*/
	s_set_vgpr_msb 0x41                     ;  msbs: dst=1 src0=1 src1=0 src2=0
	s_delay_alu instid0(VALU_DEP_1) | instskip(SKIP_1) | instid1(VALU_DEP_1)
	v_fmac_f64_e32 v[56:57] /*v[312:313]*/, v[76:77] /*v[332:333]*/, v[174:175]
	s_set_vgpr_msb 4                        ;  msbs: dst=0 src0=0 src1=1 src2=0
	v_fmac_f64_e32 v[72:73], v[168:169], v[56:57] /*v[312:313]*/
	s_set_vgpr_msb 64                       ;  msbs: dst=1 src0=0 src1=0 src2=0
	v_mov_b64_e32 v[58:59] /*v[314:315]*/, v[130:131]
	v_mov_b64_e32 v[56:57] /*v[312:313]*/, v[128:129]
	v_dual_mov_b32 v58 /*v314*/, v108 :: v_dual_mov_b32 v59 /*v315*/, v109
	s_delay_alu instid0(VALU_DEP_4)
	v_dual_mov_b32 v62 /*v318*/, v72 :: v_dual_mov_b32 v63 /*v319*/, v73
	s_set_vgpr_msb 0x45                     ;  msbs: dst=1 src0=1 src1=1 src2=0
	s_clause 0x1
	scratch_store_b128 off, v[56:59] /*v[312:315]*/, off offset:784
	scratch_store_b128 off, v[60:63] /*v[316:319]*/, off offset:800
	s_wait_xcnt 0x0
	v_mul_f64_e32 v[60:61] /*v[316:317]*/, v[36:37] /*v[292:293]*/, v[100:101] /*v[356:357]*/
	v_mul_f64_e32 v[56:57] /*v[312:313]*/, v[72:73] /*v[328:329]*/, v[100:101] /*v[356:357]*/
	;; [unrolled: 1-line block ×3, first 2 shown]
	s_delay_alu instid0(VALU_DEP_3) | instskip(NEXT) | instid1(VALU_DEP_3)
	v_fmac_f64_e32 v[60:61] /*v[316:317]*/, v[38:39] /*v[294:295]*/, v[102:103] /*v[358:359]*/
	v_fmac_f64_e32 v[56:57] /*v[312:313]*/, v[78:79] /*v[334:335]*/, v[102:103] /*v[358:359]*/
	s_delay_alu instid0(VALU_DEP_3)
	v_fmac_f64_e32 v[58:59] /*v[314:315]*/, v[74:75] /*v[330:331]*/, v[102:103] /*v[358:359]*/
	v_mul_f64_e32 v[74:75] /*v[330:331]*/, 0, v[26:27] /*v[282:283]*/
	s_set_vgpr_msb 0x51                     ;  msbs: dst=1 src0=1 src1=0 src2=1
	v_fma_f64 v[78:79] /*v[334:335]*/, -v[26:27] /*v[282:283]*/, s[2:3], v[28:29] /*v[284:285]*/
	s_set_vgpr_msb 0x44                     ;  msbs: dst=1 src0=0 src1=1 src2=0
	v_fmac_f64_e32 v[60:61] /*v[316:317]*/, v[156:157], v[104:105] /*v[360:361]*/
	s_set_vgpr_msb 0x45                     ;  msbs: dst=1 src0=1 src1=1 src2=0
	v_fmac_f64_e32 v[56:57] /*v[312:313]*/, v[80:81] /*v[336:337]*/, v[104:105] /*v[360:361]*/
	v_fmac_f64_e32 v[58:59] /*v[314:315]*/, v[76:77] /*v[332:333]*/, v[104:105] /*v[360:361]*/
	s_set_vgpr_msb 0x55                     ;  msbs: dst=1 src0=1 src1=1 src2=1
	v_fma_f64 v[72:73] /*v[328:329]*/, v[24:25] /*v[280:281]*/, -s[6:7], v[74:75] /*v[330:331]*/
	v_fma_f64 v[134:135] /*v[390:391]*/, v[4:5] /*v[260:261]*/, v[24:25] /*v[280:281]*/, v[74:75] /*v[330:331]*/
	s_set_vgpr_msb 4                        ;  msbs: dst=0 src0=0 src1=1 src2=0
	v_fmac_f64_e32 v[124:125], v[168:169], v[60:61] /*v[316:317]*/
	s_set_vgpr_msb 0x45                     ;  msbs: dst=1 src0=1 src1=1 src2=0
	v_mul_f64_e32 v[60:61] /*v[316:317]*/, v[32:33] /*v[288:289]*/, v[100:101] /*v[356:357]*/
	s_set_vgpr_msb 4                        ;  msbs: dst=0 src0=0 src1=1 src2=0
	v_fmac_f64_e32 v[84:85], v[168:169], v[56:57] /*v[312:313]*/
	v_fmac_f64_e32 v[68:69], v[168:169], v[58:59] /*v[314:315]*/
	s_set_vgpr_msb 64                       ;  msbs: dst=1 src0=0 src1=0 src2=0
	v_mov_b64_e32 v[58:59] /*v[314:315]*/, v[126:127]
	v_mov_b64_e32 v[56:57] /*v[312:313]*/, v[124:125]
	s_set_vgpr_msb 0x45                     ;  msbs: dst=1 src0=1 src1=1 src2=0
	v_fmac_f64_e32 v[60:61] /*v[316:317]*/, v[34:35] /*v[290:291]*/, v[102:103] /*v[358:359]*/
	s_set_vgpr_msb 0x44                     ;  msbs: dst=1 src0=0 src1=1 src2=0
	s_delay_alu instid0(VALU_DEP_1) | instskip(SKIP_1) | instid1(VALU_DEP_1)
	v_fmac_f64_e32 v[60:61] /*v[316:317]*/, v[148:149], v[104:105] /*v[360:361]*/
	s_set_vgpr_msb 4                        ;  msbs: dst=0 src0=0 src1=1 src2=0
	v_fmac_f64_e32 v[104:105], v[168:169], v[60:61] /*v[316:317]*/
	s_set_vgpr_msb 64                       ;  msbs: dst=1 src0=0 src1=0 src2=0
	v_mov_b64_e32 v[62:63] /*v[318:319]*/, v[86:87]
	v_mov_b64_e32 v[60:61] /*v[316:317]*/, v[84:85]
	v_dual_mov_b32 v62 /*v318*/, v68 :: v_dual_mov_b32 v63 /*v319*/, v69
	s_delay_alu instid0(VALU_DEP_4)
	v_dual_mov_b32 v58 /*v314*/, v104 :: v_dual_mov_b32 v59 /*v315*/, v105
	s_set_vgpr_msb 0x45                     ;  msbs: dst=1 src0=1 src1=1 src2=0
	s_clause 0x1
	scratch_store_b128 off, v[56:59] /*v[312:315]*/, off offset:976
	scratch_store_b128 off, v[60:63] /*v[316:319]*/, off offset:992
	s_wait_xcnt 0x1
	v_mul_f64_e32 v[56:57] /*v[312:313]*/, v[48:49] /*v[304:305]*/, v[94:95] /*v[350:351]*/
	s_delay_alu instid0(VALU_DEP_1) | instskip(SKIP_1) | instid1(VALU_DEP_1)
	v_fmac_f64_e32 v[56:57] /*v[312:313]*/, v[50:51] /*v[306:307]*/, v[96:97] /*v[352:353]*/
	s_set_vgpr_msb 0x44                     ;  msbs: dst=1 src0=0 src1=1 src2=0
	v_fmac_f64_e32 v[56:57] /*v[312:313]*/, v[170:171], v[98:99] /*v[354:355]*/
	s_set_vgpr_msb 4                        ;  msbs: dst=0 src0=0 src1=1 src2=0
	s_delay_alu instid0(VALU_DEP_1) | instskip(SKIP_2) | instid1(VALU_DEP_1)
	v_fmac_f64_e32 v[60:61], v[168:169], v[56:57] /*v[312:313]*/
	s_set_vgpr_msb 0x45                     ;  msbs: dst=1 src0=1 src1=1 src2=0
	v_mul_f64_e32 v[56:57] /*v[312:313]*/, v[42:43] /*v[298:299]*/, v[94:95] /*v[350:351]*/
	v_fmac_f64_e32 v[56:57] /*v[312:313]*/, v[40:41] /*v[296:297]*/, v[96:97] /*v[352:353]*/
	s_set_vgpr_msb 0x44                     ;  msbs: dst=1 src0=0 src1=1 src2=0
	s_delay_alu instid0(VALU_DEP_1) | instskip(SKIP_1) | instid1(VALU_DEP_1)
	v_fmac_f64_e32 v[56:57] /*v[312:313]*/, v[164:165], v[98:99] /*v[354:355]*/
	s_set_vgpr_msb 4                        ;  msbs: dst=0 src0=0 src1=1 src2=0
	v_fmac_f64_e32 v[48:49], v[168:169], v[56:57] /*v[312:313]*/
	s_set_vgpr_msb 0x45                     ;  msbs: dst=1 src0=1 src1=1 src2=0
	v_mul_f64_e32 v[56:57] /*v[312:313]*/, v[94:95] /*v[350:351]*/, v[94:95] /*v[350:351]*/
	s_delay_alu instid0(VALU_DEP_1) | instskip(NEXT) | instid1(VALU_DEP_1)
	v_fmac_f64_e32 v[56:57] /*v[312:313]*/, v[96:97] /*v[352:353]*/, v[96:97] /*v[352:353]*/
	v_fmac_f64_e32 v[56:57] /*v[312:313]*/, v[98:99] /*v[354:355]*/, v[98:99] /*v[354:355]*/
	s_set_vgpr_msb 4                        ;  msbs: dst=0 src0=0 src1=1 src2=0
	s_delay_alu instid0(VALU_DEP_1)
	v_fmac_f64_e32 v[36:37], v[168:169], v[56:57] /*v[312:313]*/
	s_set_vgpr_msb 64                       ;  msbs: dst=1 src0=0 src1=0 src2=0
	v_mov_b64_e32 v[58:59] /*v[314:315]*/, v[62:63]
	v_mov_b64_e32 v[56:57] /*v[312:313]*/, v[60:61]
	v_dual_mov_b32 v58 /*v314*/, v48 :: v_dual_mov_b32 v59 /*v315*/, v49
	s_set_vgpr_msb 0x45                     ;  msbs: dst=1 src0=1 src1=1 src2=0
	scratch_store_b128 off, v[56:59] /*v[312:315]*/, off offset:624
	s_wait_xcnt 0x0
	v_mul_f64_e32 v[56:57] /*v[312:313]*/, v[48:49] /*v[304:305]*/, v[52:53] /*v[308:309]*/
	s_delay_alu instid0(VALU_DEP_1) | instskip(SKIP_1) | instid1(VALU_DEP_1)
	v_fmac_f64_e32 v[56:57] /*v[312:313]*/, v[50:51] /*v[306:307]*/, v[54:55] /*v[310:311]*/
	s_set_vgpr_msb 64                       ;  msbs: dst=1 src0=0 src1=0 src2=0
	v_fmac_f64_e32 v[56:57] /*v[312:313]*/, v[170:171], v[174:175]
	s_set_vgpr_msb 4                        ;  msbs: dst=0 src0=0 src1=1 src2=0
	s_delay_alu instid0(VALU_DEP_1) | instskip(SKIP_2) | instid1(VALU_DEP_1)
	v_fmac_f64_e32 v[56:57], v[168:169], v[56:57] /*v[312:313]*/
	s_set_vgpr_msb 0x45                     ;  msbs: dst=1 src0=1 src1=1 src2=0
	v_mul_f64_e32 v[56:57] /*v[312:313]*/, v[42:43] /*v[298:299]*/, v[52:53] /*v[308:309]*/
	v_fmac_f64_e32 v[56:57] /*v[312:313]*/, v[40:41] /*v[296:297]*/, v[54:55] /*v[310:311]*/
	s_set_vgpr_msb 64                       ;  msbs: dst=1 src0=0 src1=0 src2=0
	s_delay_alu instid0(VALU_DEP_1) | instskip(SKIP_1) | instid1(VALU_DEP_1)
	v_fmac_f64_e32 v[56:57] /*v[312:313]*/, v[164:165], v[174:175]
	s_set_vgpr_msb 4                        ;  msbs: dst=0 src0=0 src1=1 src2=0
	v_fmac_f64_e32 v[44:45], v[168:169], v[56:57] /*v[312:313]*/
	s_set_vgpr_msb 0x45                     ;  msbs: dst=1 src0=1 src1=1 src2=0
	v_mul_f64_e32 v[56:57] /*v[312:313]*/, v[94:95] /*v[350:351]*/, v[52:53] /*v[308:309]*/
	s_delay_alu instid0(VALU_DEP_1) | instskip(SKIP_1) | instid1(VALU_DEP_1)
	v_fmac_f64_e32 v[56:57] /*v[312:313]*/, v[96:97] /*v[352:353]*/, v[54:55] /*v[310:311]*/
	s_set_vgpr_msb 0x41                     ;  msbs: dst=1 src0=1 src1=0 src2=0
	v_fmac_f64_e32 v[56:57] /*v[312:313]*/, v[98:99] /*v[354:355]*/, v[174:175]
	s_set_vgpr_msb 4                        ;  msbs: dst=0 src0=0 src1=1 src2=0
	s_delay_alu instid0(VALU_DEP_1) | instskip(SKIP_4) | instid1(VALU_DEP_3)
	v_fmac_f64_e32 v[32:33], v[168:169], v[56:57] /*v[312:313]*/
	s_set_vgpr_msb 0x45                     ;  msbs: dst=1 src0=1 src1=1 src2=0
	v_mul_f64_e32 v[56:57] /*v[312:313]*/, v[88:89] /*v[344:345]*/, v[52:53] /*v[308:309]*/
	s_set_vgpr_msb 64                       ;  msbs: dst=1 src0=0 src1=0 src2=0
	v_mov_b64_e32 v[62:63] /*v[318:319]*/, v[34:35]
	v_mov_b64_e32 v[60:61] /*v[316:317]*/, v[32:33]
	s_set_vgpr_msb 0x45                     ;  msbs: dst=1 src0=1 src1=1 src2=0
	s_delay_alu instid0(VALU_DEP_3) | instskip(SKIP_1) | instid1(VALU_DEP_1)
	v_fmac_f64_e32 v[56:57] /*v[312:313]*/, v[90:91] /*v[346:347]*/, v[54:55] /*v[310:311]*/
	s_set_vgpr_msb 0x41                     ;  msbs: dst=1 src0=1 src1=0 src2=0
	v_fmac_f64_e32 v[56:57] /*v[312:313]*/, v[92:93] /*v[348:349]*/, v[174:175]
	s_set_vgpr_msb 4                        ;  msbs: dst=0 src0=0 src1=1 src2=0
	s_delay_alu instid0(VALU_DEP_1) | instskip(SKIP_4) | instid1(VALU_DEP_4)
	v_fmac_f64_e32 v[24:25], v[168:169], v[56:57] /*v[312:313]*/
	s_set_vgpr_msb 64                       ;  msbs: dst=1 src0=0 src1=0 src2=0
	v_mov_b64_e32 v[58:59] /*v[314:315]*/, v[58:59]
	v_mov_b64_e32 v[56:57] /*v[312:313]*/, v[56:57]
	v_dual_mov_b32 v58 /*v314*/, v44 :: v_dual_mov_b32 v59 /*v315*/, v45
	v_dual_mov_b32 v62 /*v318*/, v24 :: v_dual_mov_b32 v63 /*v319*/, v25
	s_set_vgpr_msb 0x55                     ;  msbs: dst=1 src0=1 src1=1 src2=1
	s_clause 0x1
	scratch_store_b128 off, v[56:59] /*v[312:315]*/, off offset:816
	scratch_store_b128 off, v[60:63] /*v[316:319]*/, off offset:832
	s_wait_xcnt 0x0
	v_mul_f64_e32 v[60:61] /*v[316:317]*/, v[48:49] /*v[304:305]*/, v[100:101] /*v[356:357]*/
	v_mul_f64_e32 v[56:57] /*v[312:313]*/, v[94:95] /*v[350:351]*/, v[100:101] /*v[356:357]*/
	;; [unrolled: 1-line block ×3, first 2 shown]
	v_fma_f64 v[88:89] /*v[344:345]*/, -v[26:27] /*v[282:283]*/, v[2:3] /*v[258:259]*/, v[28:29] /*v[284:285]*/
	v_mul_f64_e64 v[28:29] /*v[284:285]*/, v[22:23] /*v[278:279]*/, -v[4:5] /*v[260:261]*/
	v_fmac_f64_e32 v[60:61] /*v[316:317]*/, v[50:51] /*v[306:307]*/, v[102:103] /*v[358:359]*/
	v_fmac_f64_e32 v[56:57] /*v[312:313]*/, v[96:97] /*v[352:353]*/, v[102:103] /*v[358:359]*/
	;; [unrolled: 1-line block ×3, first 2 shown]
	s_set_vgpr_msb 0x50                     ;  msbs: dst=1 src0=0 src1=0 src2=1
	v_mul_f64_e32 v[90:91] /*v[346:347]*/, 0, v[182:183]
	v_fma_f64 v[70:71] /*v[326:327]*/, v[182:183], -s[2:3], v[28:29] /*v[284:285]*/
	s_set_vgpr_msb 0x44                     ;  msbs: dst=1 src0=0 src1=1 src2=0
	v_fmac_f64_e32 v[60:61] /*v[316:317]*/, v[170:171], v[104:105] /*v[360:361]*/
	s_set_vgpr_msb 0x55                     ;  msbs: dst=1 src0=1 src1=1 src2=1
	v_fmac_f64_e32 v[56:57] /*v[312:313]*/, v[98:99] /*v[354:355]*/, v[104:105] /*v[360:361]*/
	v_fmac_f64_e32 v[58:59] /*v[314:315]*/, v[92:93] /*v[348:349]*/, v[104:105] /*v[360:361]*/
	v_fma_f64 v[92:93] /*v[348:349]*/, v[24:25] /*v[280:281]*/, -v[4:5] /*v[260:261]*/, v[74:75] /*v[330:331]*/
	v_fmac_f64_e32 v[74:75] /*v[330:331]*/, s[6:7], v[24:25] /*v[280:281]*/
	v_fma_f64 v[96:97] /*v[352:353]*/, v[22:23] /*v[278:279]*/, -v[4:5] /*v[260:261]*/, v[90:91] /*v[346:347]*/
	v_fma_f64 v[94:95] /*v[350:351]*/, v[22:23] /*v[278:279]*/, -s[6:7], v[90:91] /*v[346:347]*/
	v_fma_f64 v[146:147] /*v[402:403]*/, v[4:5] /*v[260:261]*/, v[22:23] /*v[278:279]*/, v[90:91] /*v[346:347]*/
	v_fmac_f64_e32 v[90:91] /*v[346:347]*/, s[6:7], v[22:23] /*v[278:279]*/
	s_set_vgpr_msb 4                        ;  msbs: dst=0 src0=0 src1=1 src2=0
	v_fmac_f64_e32 v[52:53], v[168:169], v[60:61] /*v[316:317]*/
	s_set_vgpr_msb 0x45                     ;  msbs: dst=1 src0=1 src1=1 src2=0
	v_mul_f64_e32 v[60:61] /*v[316:317]*/, v[42:43] /*v[298:299]*/, v[100:101] /*v[356:357]*/
	s_set_vgpr_msb 4                        ;  msbs: dst=0 src0=0 src1=1 src2=0
	v_fmac_f64_e32 v[28:29], v[168:169], v[56:57] /*v[312:313]*/
	v_fmac_f64_e32 v[20:21], v[168:169], v[58:59] /*v[314:315]*/
	s_set_vgpr_msb 64                       ;  msbs: dst=1 src0=0 src1=0 src2=0
	v_mov_b64_e32 v[58:59] /*v[314:315]*/, v[54:55]
	v_mov_b64_e32 v[56:57] /*v[312:313]*/, v[52:53]
	s_set_vgpr_msb 0x45                     ;  msbs: dst=1 src0=1 src1=1 src2=0
	v_fmac_f64_e32 v[60:61] /*v[316:317]*/, v[40:41] /*v[296:297]*/, v[102:103] /*v[358:359]*/
	s_set_vgpr_msb 0x44                     ;  msbs: dst=1 src0=0 src1=1 src2=0
	s_delay_alu instid0(VALU_DEP_1) | instskip(SKIP_1) | instid1(VALU_DEP_1)
	v_fmac_f64_e32 v[60:61] /*v[316:317]*/, v[164:165], v[104:105] /*v[360:361]*/
	s_set_vgpr_msb 4                        ;  msbs: dst=0 src0=0 src1=1 src2=0
	v_fmac_f64_e32 v[40:41], v[168:169], v[60:61] /*v[316:317]*/
	s_set_vgpr_msb 64                       ;  msbs: dst=1 src0=0 src1=0 src2=0
	v_mov_b64_e32 v[62:63] /*v[318:319]*/, v[30:31]
	v_mov_b64_e32 v[60:61] /*v[316:317]*/, v[28:29]
	v_dual_mov_b32 v62 /*v318*/, v20 :: v_dual_mov_b32 v63 /*v319*/, v21
	s_delay_alu instid0(VALU_DEP_4)
	v_dual_mov_b32 v58 /*v314*/, v40 :: v_dual_mov_b32 v59 /*v315*/, v41
	s_set_vgpr_msb 0x45                     ;  msbs: dst=1 src0=1 src1=1 src2=0
	s_clause 0x1
	scratch_store_b128 off, v[56:59] /*v[312:315]*/, off offset:1008
	scratch_store_b128 off, v[60:63] /*v[316:319]*/, off offset:1024
	s_wait_xcnt 0x1
	v_mul_f64_e32 v[56:57] /*v[312:313]*/, v[52:53] /*v[308:309]*/, v[100:101] /*v[356:357]*/
	v_mul_f64_e32 v[58:59] /*v[314:315]*/, v[46:47] /*v[302:303]*/, v[100:101] /*v[356:357]*/
	s_wait_xcnt 0x0
	v_mul_f64_e32 v[60:61] /*v[316:317]*/, v[100:101] /*v[356:357]*/, v[100:101] /*v[356:357]*/
	s_set_vgpr_msb 0                        ;  msbs: dst=0 src0=0 src1=0 src2=0
	s_clause 0x1a
	scratch_store_b128 off, v[136:139], off offset:48
	scratch_store_b128 off, v[132:135], off offset:64
	;; [unrolled: 1-line block ×27, first 2 shown]
	s_wait_xcnt 0x0
	v_cndmask_b32_e64 v0, 0, 1, s13
	s_mov_b32 s13, 0
	s_set_vgpr_msb 0x45                     ;  msbs: dst=1 src0=1 src1=1 src2=0
	v_fmac_f64_e32 v[56:57] /*v[312:313]*/, v[54:55] /*v[310:311]*/, v[102:103] /*v[358:359]*/
	v_fmac_f64_e32 v[58:59] /*v[314:315]*/, v[44:45] /*v[300:301]*/, v[102:103] /*v[358:359]*/
	;; [unrolled: 1-line block ×3, first 2 shown]
	s_set_vgpr_msb 0x44                     ;  msbs: dst=1 src0=0 src1=1 src2=0
	v_mul_f64_e32 v[102:103] /*v[358:359]*/, v[178:179], v[66:67] /*v[322:323]*/
	s_set_vgpr_msb 4                        ;  msbs: dst=0 src0=0 src1=1 src2=0
	v_mul_f64_e32 v[178:179], v[180:181], v[66:67] /*v[322:323]*/
	s_set_vgpr_msb 0                        ;  msbs: dst=0 src0=0 src1=0 src2=0
	v_cmp_ne_u32_e32 vcc_lo, 1, v0
	s_clause 0x1
	scratch_store_b128 off, v[140:143], off offset:32
	scratch_store_b128 off, v[120:123], off offset:128
	s_and_b32 vcc_lo, exec_lo, vcc_lo
	s_set_vgpr_msb 0x44                     ;  msbs: dst=1 src0=0 src1=1 src2=0
	v_fmac_f64_e32 v[56:57] /*v[312:313]*/, v[174:175], v[104:105] /*v[360:361]*/
	v_fmac_f64_e32 v[58:59] /*v[314:315]*/, v[172:173], v[104:105] /*v[360:361]*/
	s_set_vgpr_msb 0x45                     ;  msbs: dst=1 src0=1 src1=1 src2=0
	v_fmac_f64_e32 v[60:61] /*v[316:317]*/, v[104:105] /*v[360:361]*/, v[104:105] /*v[360:361]*/
	v_mul_f64_e32 v[104:105] /*v[360:361]*/, 0, v[102:103] /*v[358:359]*/
	s_set_vgpr_msb 0x44                     ;  msbs: dst=1 src0=0 src1=1 src2=0
	v_mul_f64_e64 v[108:109] /*v[364:365]*/, v[178:179], -v[4:5] /*v[260:261]*/
	s_set_vgpr_msb 0                        ;  msbs: dst=0 src0=0 src1=0 src2=0
	v_mul_f64_e32 v[180:181], s[6:7], v[178:179]
	s_set_vgpr_msb 4                        ;  msbs: dst=0 src0=0 src1=1 src2=0
	v_fmac_f64_e32 v[12:13], v[168:169], v[56:57] /*v[312:313]*/
	v_fmac_f64_e32 v[8:9], v[168:169], v[58:59] /*v[314:315]*/
	s_set_vgpr_msb 64                       ;  msbs: dst=1 src0=0 src1=0 src2=0
	v_mov_b64_e32 v[58:59] /*v[314:315]*/, v[14:15]
	s_set_vgpr_msb 4                        ;  msbs: dst=0 src0=0 src1=1 src2=0
	v_fmac_f64_e32 v[4:5], v[168:169], v[60:61] /*v[316:317]*/
	s_set_vgpr_msb 0x45                     ;  msbs: dst=1 src0=1 src1=1 src2=0
	v_mul_f64_e64 v[60:61] /*v[316:317]*/, v[24:25] /*v[280:281]*/, -v[4:5] /*v[260:261]*/
	s_set_vgpr_msb 0x54                     ;  msbs: dst=1 src0=0 src1=1 src2=1
	v_fma_f64 v[30:31] /*v[286:287]*/, v[178:179], -v[4:5] /*v[260:261]*/, v[104:105] /*v[360:361]*/
	v_fma_f64 v[106:107] /*v[362:363]*/, v[178:179], -s[6:7], v[104:105] /*v[360:361]*/
	s_set_vgpr_msb 0x51                     ;  msbs: dst=1 src0=1 src1=0 src2=1
	v_fma_f64 v[28:29] /*v[284:285]*/, v[4:5] /*v[260:261]*/, v[178:179], v[104:105] /*v[360:361]*/
	v_fmac_f64_e32 v[104:105] /*v[360:361]*/, s[6:7], v[178:179]
	s_set_vgpr_msb 5                        ;  msbs: dst=0 src0=1 src1=1 src2=0
	v_fmac_f64_e32 v[180:181], v[2:3] /*v[258:259]*/, v[102:103] /*v[358:359]*/
	s_set_vgpr_msb 64                       ;  msbs: dst=1 src0=0 src1=0 src2=0
	v_mov_b64_e32 v[56:57] /*v[312:313]*/, v[12:13]
	v_dual_mov_b32 v58 /*v314*/, v8 :: v_dual_mov_b32 v59 /*v315*/, v9
	scratch_store_b128 off, v[8:11], off offset:960
	s_set_vgpr_msb 0x51                     ;  msbs: dst=1 src0=1 src1=0 src2=1
	v_fma_f64 v[62:63] /*v[318:319]*/, v[26:27] /*v[282:283]*/, -s[2:3], v[60:61] /*v[316:317]*/
	v_mul_f64_e64 v[60:61] /*v[316:317]*/, v[22:23] /*v[278:279]*/, -s[6:7]
	s_set_vgpr_msb 0x44                     ;  msbs: dst=1 src0=0 src1=1 src2=0
	v_fmac_f64_e32 v[30:31] /*v[286:287]*/, v[176:177], v[118:119] /*v[374:375]*/
	scratch_store_b128 off, v[56:59] /*v[312:315]*/, off offset:1040
	s_wait_xcnt 0x0
	v_mul_f64_e32 v[58:59] /*v[314:315]*/, s[6:7], v[24:25] /*v[280:281]*/
	s_set_vgpr_msb 0x41                     ;  msbs: dst=1 src0=1 src1=0 src2=0
	v_mul_f64_e64 v[56:57] /*v[312:313]*/, v[24:25] /*v[280:281]*/, -s[6:7]
	s_set_vgpr_msb 0x44                     ;  msbs: dst=1 src0=0 src1=1 src2=0
	v_mul_f64_e32 v[24:25] /*v[280:281]*/, 0, v[22:23] /*v[278:279]*/
	v_fmac_f64_e32 v[28:29] /*v[284:285]*/, s[8:9], v[118:119] /*v[374:375]*/
	s_set_vgpr_msb 4                        ;  msbs: dst=0 src0=0 src1=1 src2=0
	v_fmac_f64_e32 v[180:181], 0, v[118:119] /*v[374:375]*/
	s_set_vgpr_msb 64                       ;  msbs: dst=1 src0=0 src1=0 src2=0
	scratch_store_b128 off, v[12:15], off offset:864
	v_fmac_f64_e32 v[60:61] /*v[316:317]*/, s[2:3], v[182:183]
	s_set_vgpr_msb 0x45                     ;  msbs: dst=1 src0=1 src1=1 src2=0
	v_fmac_f64_e32 v[58:59] /*v[314:315]*/, v[2:3] /*v[258:259]*/, v[26:27] /*v[282:283]*/
	v_fmac_f64_e32 v[56:57] /*v[312:313]*/, s[2:3], v[26:27] /*v[282:283]*/
	v_mul_f64_e32 v[26:27] /*v[282:283]*/, v[4:5] /*v[260:261]*/, v[22:23] /*v[278:279]*/
	s_set_vgpr_msb 0x51                     ;  msbs: dst=1 src0=1 src1=0 src2=1
	v_fma_f64 v[98:99] /*v[354:355]*/, v[2:3] /*v[258:259]*/, v[182:183], v[24:25] /*v[280:281]*/
	v_fma_f64 v[86:87] /*v[342:343]*/, s[2:3], v[182:183], v[24:25] /*v[280:281]*/
	s_set_vgpr_msb 0x54                     ;  msbs: dst=1 src0=0 src1=1 src2=1
	v_fma_f64 v[100:101] /*v[356:357]*/, -v[182:183], v[2:3] /*v[258:259]*/, v[24:25] /*v[280:281]*/
	v_fma_f64 v[80:81] /*v[336:337]*/, -v[182:183], s[2:3], v[24:25] /*v[280:281]*/
	s_set_vgpr_msb 0x41                     ;  msbs: dst=1 src0=1 src1=0 src2=0
	v_mul_f64_e32 v[22:23] /*v[278:279]*/, v[4:5] /*v[260:261]*/, v[178:179]
	s_set_vgpr_msb 0x54                     ;  msbs: dst=1 src0=0 src1=1 src2=1
	v_fma_f64 v[76:77] /*v[332:333]*/, v[182:183], -v[2:3] /*v[258:259]*/, v[26:27] /*v[282:283]*/
	s_set_vgpr_msb 0                        ;  msbs: dst=0 src0=0 src1=0 src2=0
	v_mul_f64_e32 v[182:183], 0, v[178:179]
	v_mul_f64_e64 v[178:179], v[178:179], -s[6:7]
	s_set_vgpr_msb 0x55                     ;  msbs: dst=1 src0=1 src1=1 src2=1
	s_delay_alu instid0(VALU_DEP_4) | instskip(SKIP_1) | instid1(VALU_DEP_3)
	v_fma_f64 v[22:23] /*v[278:279]*/, v[102:103] /*v[358:359]*/, -v[2:3] /*v[258:259]*/, v[22:23] /*v[278:279]*/
	s_set_vgpr_msb 0x45                     ;  msbs: dst=1 src0=1 src1=1 src2=0
	v_fma_f64 v[110:111] /*v[366:367]*/, v[2:3] /*v[258:259]*/, v[102:103] /*v[358:359]*/, v[182:183]
	v_fma_f64 v[26:27] /*v[282:283]*/, s[2:3], v[102:103] /*v[358:359]*/, v[182:183]
	v_fma_f64 v[114:115] /*v[370:371]*/, -v[102:103] /*v[358:359]*/, v[2:3] /*v[258:259]*/, v[182:183]
	v_fma_f64 v[24:25] /*v[280:281]*/, -v[102:103] /*v[358:359]*/, s[2:3], v[182:183]
	s_set_vgpr_msb 17                       ;  msbs: dst=0 src0=1 src1=0 src2=1
	v_fma_f64 v[182:183], v[102:103] /*v[358:359]*/, -s[2:3], v[108:109] /*v[364:365]*/
	s_set_vgpr_msb 4                        ;  msbs: dst=0 src0=0 src1=1 src2=0
	v_fmac_f64_e32 v[178:179], s[2:3], v[102:103] /*v[358:359]*/
	s_set_vgpr_msb 0x45                     ;  msbs: dst=1 src0=1 src1=1 src2=0
	v_mul_f64_e32 v[102:103] /*v[358:359]*/, v[10:11] /*v[266:267]*/, v[66:67] /*v[322:323]*/
	v_mul_f64_e32 v[108:109] /*v[364:365]*/, v[12:13] /*v[268:269]*/, v[66:67] /*v[322:323]*/
	v_fmac_f64_e32 v[22:23] /*v[278:279]*/, 0, v[118:119] /*v[374:375]*/
	s_set_vgpr_msb 0x51                     ;  msbs: dst=1 src0=1 src1=0 src2=1
	v_fma_f64 v[66:67] /*v[322:323]*/, v[118:119] /*v[374:375]*/, -v[176:177], v[110:111] /*v[366:367]*/
	s_set_vgpr_msb 0x44                     ;  msbs: dst=1 src0=0 src1=1 src2=0
	v_fmac_f64_e32 v[26:27] /*v[282:283]*/, v[176:177], v[118:119] /*v[374:375]*/
	v_fmac_f64_e32 v[24:25] /*v[280:281]*/, s[8:9], v[118:119] /*v[374:375]*/
	s_set_vgpr_msb 4                        ;  msbs: dst=0 src0=0 src1=1 src2=0
	v_fmac_f64_e32 v[182:183], 0, v[118:119] /*v[374:375]*/
	v_fmac_f64_e32 v[178:179], 0, v[118:119] /*v[374:375]*/
	s_set_vgpr_msb 0x51                     ;  msbs: dst=1 src0=1 src1=0 src2=1
	v_fma_f64 v[136:137] /*v[392:393]*/, v[102:103] /*v[358:359]*/, -v[176:177], v[82:83] /*v[338:339]*/
	s_set_vgpr_msb 0x45                     ;  msbs: dst=1 src0=1 src1=1 src2=0
	v_mul_f64_e32 v[82:83] /*v[338:339]*/, v[36:37] /*v[292:293]*/, v[36:37] /*v[292:293]*/
	v_mul_f64_e32 v[36:37] /*v[292:293]*/, v[36:37] /*v[292:293]*/, v[32:33] /*v[288:289]*/
	;; [unrolled: 1-line block ×3, first 2 shown]
	s_set_vgpr_msb 0x44                     ;  msbs: dst=1 src0=0 src1=1 src2=0
	v_fmac_f64_e32 v[96:97] /*v[352:353]*/, v[176:177], v[108:109] /*v[364:365]*/
	s_set_vgpr_msb 0x51                     ;  msbs: dst=1 src0=1 src1=0 src2=1
	v_fma_f64 v[126:127] /*v[382:383]*/, -v[108:109] /*v[364:365]*/, v[176:177], v[94:95] /*v[350:351]*/
	v_fma_f64 v[138:139] /*v[394:395]*/, v[108:109] /*v[364:365]*/, -v[176:177], v[98:99] /*v[354:355]*/
	s_set_vgpr_msb 0x44                     ;  msbs: dst=1 src0=0 src1=1 src2=0
	v_fmac_f64_e32 v[86:87] /*v[342:343]*/, v[176:177], v[108:109] /*v[364:365]*/
	v_fmac_f64_e32 v[146:147] /*v[402:403]*/, s[8:9], v[108:109] /*v[364:365]*/
	s_set_vgpr_msb 0x51                     ;  msbs: dst=1 src0=1 src1=0 src2=1
	v_fma_f64 v[164:165] /*v[420:421]*/, -v[108:109] /*v[364:365]*/, s[8:9], v[90:91] /*v[346:347]*/
	v_fma_f64 v[116:117] /*v[372:373]*/, v[108:109] /*v[364:365]*/, -s[8:9], v[100:101] /*v[356:357]*/
	s_set_vgpr_msb 0x44                     ;  msbs: dst=1 src0=0 src1=1 src2=0
	v_fmac_f64_e32 v[80:81] /*v[336:337]*/, s[8:9], v[108:109] /*v[364:365]*/
	v_fmac_f64_e32 v[76:77] /*v[332:333]*/, 0, v[108:109] /*v[364:365]*/
	;; [unrolled: 1-line block ×6, first 2 shown]
	s_set_vgpr_msb 0x51                     ;  msbs: dst=1 src0=1 src1=0 src2=1
	v_fma_f64 v[124:125] /*v[380:381]*/, -v[102:103] /*v[358:359]*/, v[176:177], v[72:73] /*v[328:329]*/
	v_fma_f64 v[72:73] /*v[328:329]*/, -v[118:119] /*v[374:375]*/, v[176:177], v[106:107] /*v[362:363]*/
	s_set_vgpr_msb 0x44                     ;  msbs: dst=1 src0=0 src1=1 src2=0
	v_fmac_f64_e32 v[84:85] /*v[340:341]*/, v[176:177], v[102:103] /*v[358:359]*/
	v_fmac_f64_e32 v[134:135] /*v[390:391]*/, s[8:9], v[102:103] /*v[358:359]*/
	s_set_vgpr_msb 0x51                     ;  msbs: dst=1 src0=1 src1=0 src2=1
	v_fma_f64 v[160:161] /*v[416:417]*/, -v[102:103] /*v[358:359]*/, s[8:9], v[74:75] /*v[330:331]*/
	v_fma_f64 v[112:113] /*v[368:369]*/, v[102:103] /*v[358:359]*/, -s[8:9], v[88:89] /*v[344:345]*/
	s_set_vgpr_msb 0x44                     ;  msbs: dst=1 src0=0 src1=1 src2=0
	v_fmac_f64_e32 v[78:79] /*v[334:335]*/, s[8:9], v[102:103] /*v[358:359]*/
	v_fmac_f64_e32 v[68:69] /*v[324:325]*/, 0, v[102:103] /*v[358:359]*/
	;; [unrolled: 1-line block ×5, first 2 shown]
	s_set_vgpr_msb 0x51                     ;  msbs: dst=1 src0=1 src1=0 src2=1
	v_fma_f64 v[74:75] /*v[330:331]*/, -v[118:119] /*v[374:375]*/, s[8:9], v[104:105] /*v[360:361]*/
	s_set_vgpr_msb 17                       ;  msbs: dst=0 src0=1 src1=0 src2=1
	v_fma_f64 v[176:177], v[118:119] /*v[374:375]*/, -s[8:9], v[114:115] /*v[370:371]*/
	s_mov_b64 s[8:9], 0x3fe93cd3a2c8198e
	s_set_vgpr_msb 0x45                     ;  msbs: dst=1 src0=1 src1=1 src2=0
	v_fmac_f64_e32 v[82:83] /*v[338:339]*/, v[38:39] /*v[294:295]*/, v[38:39] /*v[294:295]*/
	v_fmac_f64_e32 v[36:37] /*v[292:293]*/, v[38:39] /*v[294:295]*/, v[34:35] /*v[290:291]*/
	v_mul_f64_e32 v[38:39] /*v[294:295]*/, v[48:49] /*v[304:305]*/, v[42:43] /*v[298:299]*/
	v_mul_f64_e32 v[42:43] /*v[298:299]*/, v[42:43] /*v[298:299]*/, v[42:43] /*v[298:299]*/
	v_fmac_f64_e32 v[32:33] /*v[288:289]*/, v[34:35] /*v[290:291]*/, v[34:35] /*v[290:291]*/
	v_mul_f64_e32 v[34:35] /*v[290:291]*/, v[48:49] /*v[304:305]*/, v[48:49] /*v[304:305]*/
	v_mul_f64_e32 v[48:49] /*v[304:305]*/, v[52:53] /*v[308:309]*/, v[46:47] /*v[302:303]*/
	;; [unrolled: 1-line block ×29, first 2 shown]
	v_fmac_f64_e32 v[38:39] /*v[294:295]*/, v[50:51] /*v[306:307]*/, v[40:41] /*v[296:297]*/
	v_fmac_f64_e32 v[42:43] /*v[298:299]*/, v[40:41] /*v[296:297]*/, v[40:41] /*v[296:297]*/
	v_mul_f64_e32 v[40:41] /*v[296:297]*/, v[52:53] /*v[308:309]*/, v[52:53] /*v[308:309]*/
	v_fmac_f64_e32 v[34:35] /*v[290:291]*/, v[50:51] /*v[306:307]*/, v[50:51] /*v[306:307]*/
	v_fmac_f64_e32 v[48:49] /*v[304:305]*/, v[54:55] /*v[310:311]*/, v[44:45] /*v[300:301]*/
	;; [unrolled: 1-line block ×3, first 2 shown]
	v_mul_f64_e32 v[44:45] /*v[300:301]*/, v[96:97] /*v[352:353]*/, v[96:97] /*v[352:353]*/
	v_mul_f64_e32 v[50:51] /*v[306:307]*/, v[96:97] /*v[352:353]*/, v[126:127] /*v[382:383]*/
	;; [unrolled: 1-line block ×3, first 2 shown]
	v_fmac_f64_e32 v[88:89] /*v[344:345]*/, v[92:93] /*v[348:349]*/, v[136:137] /*v[392:393]*/
	v_fmac_f64_e32 v[90:91] /*v[346:347]*/, v[92:93] /*v[348:349]*/, v[84:85] /*v[340:341]*/
	;; [unrolled: 1-line block ×26, first 2 shown]
	v_mul_f64_e32 v[54:55] /*v[310:311]*/, v[96:97] /*v[352:353]*/, v[164:165] /*v[420:421]*/
	v_mul_f64_e32 v[96:97] /*v[352:353]*/, v[126:127] /*v[382:383]*/, v[146:147] /*v[402:403]*/
	;; [unrolled: 1-line block ×3, first 2 shown]
	v_fmac_f64_e32 v[44:45] /*v[300:301]*/, v[92:93] /*v[348:349]*/, v[92:93] /*v[348:349]*/
	v_fmac_f64_e32 v[50:51] /*v[306:307]*/, v[92:93] /*v[348:349]*/, v[124:125] /*v[380:381]*/
	;; [unrolled: 1-line block ×3, first 2 shown]
	v_mul_f64_e32 v[170:171] /*v[426:427]*/, v[164:165] /*v[420:421]*/, v[80:81] /*v[336:337]*/
	v_mul_f64_e32 v[162:163] /*v[418:419]*/, v[164:165] /*v[420:421]*/, v[76:77] /*v[332:333]*/
	;; [unrolled: 1-line block ×4, first 2 shown]
	v_fmac_f64_e32 v[166:167] /*v[422:423]*/, v[160:161] /*v[416:417]*/, v[84:85] /*v[340:341]*/
	v_mul_f64_e32 v[174:175] /*v[430:431]*/, v[138:139] /*v[394:395]*/, v[86:87] /*v[342:343]*/
	v_mul_f64_e32 v[176:177] /*v[432:433]*/, v[138:139] /*v[394:395]*/, v[116:117] /*v[372:373]*/
	;; [unrolled: 1-line block ×21, first 2 shown]
	v_fmac_f64_e32 v[54:55] /*v[310:311]*/, v[92:93] /*v[348:349]*/, v[160:161] /*v[416:417]*/
	v_mul_f64_e32 v[92:93] /*v[348:349]*/, v[126:127] /*v[382:383]*/, v[126:127] /*v[382:383]*/
	v_fmac_f64_e32 v[96:97] /*v[352:353]*/, v[124:125] /*v[380:381]*/, v[134:135] /*v[390:391]*/
	v_mul_f64_e32 v[126:127] /*v[382:383]*/, v[146:147] /*v[402:403]*/, v[164:165] /*v[420:421]*/
	v_fmac_f64_e32 v[158:159] /*v[414:415]*/, v[160:161] /*v[416:417]*/, v[112:113] /*v[368:369]*/
	s_set_vgpr_msb 64                       ;  msbs: dst=1 src0=0 src1=0 src2=0
	v_fmac_f64_e32 v[38:39] /*v[294:295]*/, v[170:171], v[164:165]
	s_set_vgpr_msb 0x45                     ;  msbs: dst=1 src0=1 src1=1 src2=0
	v_fmac_f64_e32 v[170:171] /*v[426:427]*/, v[160:161] /*v[416:417]*/, v[78:79] /*v[334:335]*/
	v_fmac_f64_e32 v[162:163] /*v[418:419]*/, v[160:161] /*v[416:417]*/, v[68:69] /*v[324:325]*/
	;; [unrolled: 1-line block ×4, first 2 shown]
	s_set_vgpr_msb 64                       ;  msbs: dst=1 src0=0 src1=0 src2=0
	v_fmac_f64_e32 v[36:37] /*v[292:293]*/, v[156:157], v[148:149]
	s_set_vgpr_msb 0x45                     ;  msbs: dst=1 src0=1 src1=1 src2=0
	v_fmac_f64_e32 v[174:175] /*v[430:431]*/, v[136:137] /*v[392:393]*/, v[84:85] /*v[340:341]*/
	v_fmac_f64_e32 v[176:177] /*v[432:433]*/, v[136:137] /*v[392:393]*/, v[112:113] /*v[368:369]*/
	;; [unrolled: 1-line block ×21, first 2 shown]
	s_set_vgpr_msb 64                       ;  msbs: dst=1 src0=0 src1=0 src2=0
	v_fmac_f64_e32 v[48:49] /*v[304:305]*/, v[174:175], v[172:173]
	s_set_vgpr_msb 0x45                     ;  msbs: dst=1 src0=1 src1=1 src2=0
	v_fmac_f64_e32 v[92:93] /*v[348:349]*/, v[124:125] /*v[380:381]*/, v[124:125] /*v[380:381]*/
	v_mul_f64_e32 v[124:125] /*v[380:381]*/, v[146:147] /*v[402:403]*/, v[146:147] /*v[402:403]*/
	v_fmac_f64_e32 v[126:127] /*v[382:383]*/, v[134:135] /*v[390:391]*/, v[160:161] /*v[416:417]*/
	v_mul_f64_e32 v[146:147] /*v[402:403]*/, v[164:165] /*v[420:421]*/, v[138:139] /*v[394:395]*/
	s_set_vgpr_msb 64                       ;  msbs: dst=1 src0=0 src1=0 src2=0
	v_fmac_f64_e32 v[82:83] /*v[338:339]*/, v[156:157], v[156:157]
	v_fmac_f64_e32 v[32:33] /*v[288:289]*/, v[148:149], v[148:149]
	;; [unrolled: 1-line block ×6, first 2 shown]
	s_set_vgpr_msb 0x45                     ;  msbs: dst=1 src0=1 src1=1 src2=0
	v_fmac_f64_e32 v[98:99] /*v[354:355]*/, v[30:31] /*v[286:287]*/, v[24:25] /*v[280:281]*/
	s_set_vgpr_msb 0x41                     ;  msbs: dst=1 src0=1 src1=0 src2=0
	v_fmac_f64_e32 v[104:105] /*v[360:361]*/, v[30:31] /*v[286:287]*/, v[182:183]
	v_fmac_f64_e32 v[108:109] /*v[364:365]*/, v[30:31] /*v[286:287]*/, v[178:179]
	s_set_vgpr_msb 0x45                     ;  msbs: dst=1 src0=1 src1=1 src2=0
	v_fmac_f64_e32 v[128:129] /*v[384:385]*/, v[72:73] /*v[328:329]*/, v[24:25] /*v[280:281]*/
	s_set_vgpr_msb 0x41                     ;  msbs: dst=1 src0=1 src1=0 src2=0
	v_fmac_f64_e32 v[130:131] /*v[386:387]*/, v[72:73] /*v[328:329]*/, v[182:183]
	v_fmac_f64_e32 v[132:133] /*v[388:389]*/, v[72:73] /*v[328:329]*/, v[178:179]
	s_set_vgpr_msb 0x45                     ;  msbs: dst=1 src0=1 src1=1 src2=0
	v_fmac_f64_e32 v[90:91] /*v[346:347]*/, v[30:31] /*v[286:287]*/, v[26:27] /*v[282:283]*/
	v_fmac_f64_e32 v[120:121] /*v[376:377]*/, v[72:73] /*v[328:329]*/, v[26:27] /*v[282:283]*/
	v_fmac_f64_e32 v[148:149] /*v[404:405]*/, v[28:29] /*v[284:285]*/, v[24:25] /*v[280:281]*/
	v_fmac_f64_e32 v[142:143] /*v[398:399]*/, v[28:29] /*v[284:285]*/, v[26:27] /*v[282:283]*/
	v_fmac_f64_e32 v[166:167] /*v[422:423]*/, v[74:75] /*v[330:331]*/, v[26:27] /*v[282:283]*/
	v_fmac_f64_e32 v[170:171] /*v[426:427]*/, v[74:75] /*v[330:331]*/, v[24:25] /*v[280:281]*/
	v_fmac_f64_e32 v[102:103] /*v[358:359]*/, v[30:31] /*v[286:287]*/, v[22:23] /*v[278:279]*/
	v_fmac_f64_e32 v[118:119] /*v[374:375]*/, v[72:73] /*v[328:329]*/, v[22:23] /*v[278:279]*/
	s_set_vgpr_msb 0x41                     ;  msbs: dst=1 src0=1 src1=0 src2=0
	v_fmac_f64_e32 v[152:153] /*v[408:409]*/, v[28:29] /*v[284:285]*/, v[182:183]
	v_fmac_f64_e32 v[156:157] /*v[412:413]*/, v[28:29] /*v[284:285]*/, v[178:179]
	;; [unrolled: 1-line block ×8, first 2 shown]
	s_set_vgpr_msb 4                        ;  msbs: dst=0 src0=0 src1=1 src2=0
	v_fmac_f64_e32 v[66:67], v[168:169], v[38:39] /*v[294:295]*/
	s_set_vgpr_msb 0x45                     ;  msbs: dst=1 src0=1 src1=1 src2=0
	v_fmac_f64_e32 v[124:125] /*v[380:381]*/, v[134:135] /*v[390:391]*/, v[134:135] /*v[390:391]*/
	v_mul_f64_e32 v[134:135] /*v[390:391]*/, v[164:165] /*v[420:421]*/, v[164:165] /*v[420:421]*/
	v_mul_f64_e32 v[164:165] /*v[420:421]*/, v[164:165] /*v[420:421]*/, v[60:61] /*v[316:317]*/
	v_fmac_f64_e32 v[146:147] /*v[402:403]*/, v[160:161] /*v[416:417]*/, v[136:137] /*v[392:393]*/
	v_fmac_f64_e32 v[88:89] /*v[344:345]*/, v[30:31] /*v[286:287]*/, v[66:67] /*v[322:323]*/
	s_set_vgpr_msb 0x41                     ;  msbs: dst=1 src0=1 src1=0 src2=0
	v_fmac_f64_e32 v[94:95] /*v[350:351]*/, v[30:31] /*v[286:287]*/, v[176:177]
	s_set_vgpr_msb 0x45                     ;  msbs: dst=1 src0=1 src1=1 src2=0
	v_fmac_f64_e32 v[110:111] /*v[366:367]*/, v[72:73] /*v[328:329]*/, v[66:67] /*v[322:323]*/
	s_set_vgpr_msb 0x41                     ;  msbs: dst=1 src0=1 src1=0 src2=0
	v_fmac_f64_e32 v[114:115] /*v[370:371]*/, v[72:73] /*v[328:329]*/, v[176:177]
	s_set_vgpr_msb 64                       ;  msbs: dst=1 src0=0 src1=0 src2=0
	v_fmac_f64_e32 v[200:201] /*v[456:457]*/, v[176:177], v[182:183]
	s_set_vgpr_msb 0x41                     ;  msbs: dst=1 src0=1 src1=0 src2=0
	v_fmac_f64_e32 v[106:107] /*v[362:363]*/, v[30:31] /*v[286:287]*/, v[180:181]
	v_fmac_f64_e32 v[122:123] /*v[378:379]*/, v[72:73] /*v[328:329]*/, v[180:181]
	s_set_vgpr_msb 0x45                     ;  msbs: dst=1 src0=1 src1=1 src2=0
	v_fmac_f64_e32 v[140:141] /*v[396:397]*/, v[28:29] /*v[284:285]*/, v[66:67] /*v[322:323]*/
	s_set_vgpr_msb 4                        ;  msbs: dst=0 src0=0 src1=1 src2=0
	v_fmac_f64_e32 v[146:147], v[168:169], v[36:37] /*v[292:293]*/
	v_fmac_f64_e32 v[18:19], v[168:169], v[48:49] /*v[304:305]*/
	s_set_vgpr_msb 0x41                     ;  msbs: dst=1 src0=1 src1=0 src2=0
	v_fmac_f64_e32 v[144:145] /*v[400:401]*/, v[28:29] /*v[284:285]*/, v[176:177]
	v_fmac_f64_e32 v[158:159] /*v[414:415]*/, v[74:75] /*v[330:331]*/, v[176:177]
	s_set_vgpr_msb 0x45                     ;  msbs: dst=1 src0=1 src1=1 src2=0
	v_fmac_f64_e32 v[44:45] /*v[300:301]*/, v[30:31] /*v[286:287]*/, v[30:31] /*v[286:287]*/
	v_fmac_f64_e32 v[50:51] /*v[306:307]*/, v[30:31] /*v[286:287]*/, v[72:73] /*v[328:329]*/
	v_fmac_f64_e32 v[52:53] /*v[308:309]*/, v[30:31] /*v[286:287]*/, v[28:29] /*v[284:285]*/
	v_fmac_f64_e32 v[54:55] /*v[310:311]*/, v[30:31] /*v[286:287]*/, v[74:75] /*v[330:331]*/
	v_fmac_f64_e32 v[92:93] /*v[348:349]*/, v[72:73] /*v[328:329]*/, v[72:73] /*v[328:329]*/
	v_fmac_f64_e32 v[96:97] /*v[352:353]*/, v[72:73] /*v[328:329]*/, v[28:29] /*v[284:285]*/
	v_fmac_f64_e32 v[100:101] /*v[356:357]*/, v[72:73] /*v[328:329]*/, v[74:75] /*v[330:331]*/
	v_fmac_f64_e32 v[126:127] /*v[382:383]*/, v[28:29] /*v[284:285]*/, v[74:75] /*v[330:331]*/
	v_fmac_f64_e32 v[150:151] /*v[406:407]*/, v[28:29] /*v[284:285]*/, v[22:23] /*v[278:279]*/
	s_set_vgpr_msb 0x41                     ;  msbs: dst=1 src0=1 src1=0 src2=0
	v_fmac_f64_e32 v[154:155] /*v[410:411]*/, v[28:29] /*v[284:285]*/, v[180:181]
	s_set_vgpr_msb 0x45                     ;  msbs: dst=1 src0=1 src1=1 src2=0
	v_fmac_f64_e32 v[162:163] /*v[418:419]*/, v[74:75] /*v[330:331]*/, v[22:23] /*v[278:279]*/
	s_set_vgpr_msb 0x41                     ;  msbs: dst=1 src0=1 src1=0 src2=0
	v_fmac_f64_e32 v[168:169] /*v[424:425]*/, v[74:75] /*v[330:331]*/, v[180:181]
	s_set_vgpr_msb 0x45                     ;  msbs: dst=1 src0=1 src1=1 src2=0
	v_fmac_f64_e32 v[174:175] /*v[430:431]*/, v[66:67] /*v[322:323]*/, v[26:27] /*v[282:283]*/
	;; [unrolled: 4-line block ×3, first 2 shown]
	v_fmac_f64_e32 v[180:181] /*v[436:437]*/, v[66:67] /*v[322:323]*/, v[22:23] /*v[278:279]*/
	v_fmac_f64_e32 v[124:125] /*v[380:381]*/, v[28:29] /*v[284:285]*/, v[28:29] /*v[284:285]*/
	;; [unrolled: 1-line block ×4, first 2 shown]
	v_mul_f64_e32 v[160:161] /*v[416:417]*/, v[138:139] /*v[394:395]*/, v[138:139] /*v[394:395]*/
	v_mul_f64_e32 v[138:139] /*v[394:395]*/, v[86:87] /*v[342:343]*/, v[116:117] /*v[372:373]*/
	v_fmac_f64_e32 v[146:147] /*v[402:403]*/, v[74:75] /*v[330:331]*/, v[66:67] /*v[322:323]*/
	s_set_vgpr_msb 0x41                     ;  msbs: dst=1 src0=1 src1=0 src2=0
	v_fmac_f64_e32 v[184:185] /*v[440:441]*/, v[66:67] /*v[322:323]*/, v[180:181]
	s_set_vgpr_msb 0x45                     ;  msbs: dst=1 src0=1 src1=1 src2=0
	v_fmac_f64_e32 v[186:187] /*v[442:443]*/, v[26:27] /*v[282:283]*/, v[24:25] /*v[280:281]*/
	v_fmac_f64_e32 v[190:191] /*v[446:447]*/, v[26:27] /*v[282:283]*/, v[22:23] /*v[278:279]*/
	s_set_vgpr_msb 0x41                     ;  msbs: dst=1 src0=1 src1=0 src2=0
	v_fmac_f64_e32 v[192:193] /*v[448:449]*/, v[26:27] /*v[282:283]*/, v[180:181]
	s_set_vgpr_msb 0x44                     ;  msbs: dst=1 src0=0 src1=1 src2=0
	v_fmac_f64_e32 v[198:199] /*v[454:455]*/, v[176:177], v[22:23] /*v[278:279]*/
	s_set_vgpr_msb 64                       ;  msbs: dst=1 src0=0 src1=0 src2=0
	v_fmac_f64_e32 v[202:203] /*v[458:459]*/, v[176:177], v[180:181]
	s_set_vgpr_msb 0x45                     ;  msbs: dst=1 src0=1 src1=1 src2=0
	v_fmac_f64_e32 v[204:205] /*v[460:461]*/, v[24:25] /*v[280:281]*/, v[22:23] /*v[278:279]*/
	s_set_vgpr_msb 0x41                     ;  msbs: dst=1 src0=1 src1=0 src2=0
	v_fmac_f64_e32 v[208:209] /*v[464:465]*/, v[24:25] /*v[280:281]*/, v[180:181]
	v_fmac_f64_e32 v[210:211] /*v[466:467]*/, v[22:23] /*v[278:279]*/, v[182:183]
	;; [unrolled: 1-line block ×3, first 2 shown]
	s_set_vgpr_msb 64                       ;  msbs: dst=1 src0=0 src1=0 src2=0
	v_fmac_f64_e32 v[214:215] /*v[470:471]*/, v[182:183], v[180:181]
	s_set_vgpr_msb 4                        ;  msbs: dst=0 src0=0 src1=1 src2=0
	v_fmac_f64_e32 v[144:145], v[168:169], v[82:83] /*v[338:339]*/
	v_fmac_f64_e32 v[166:167], v[168:169], v[32:33] /*v[288:289]*/
	;; [unrolled: 1-line block ×15, first 2 shown]
	s_set_vgpr_msb 0                        ;  msbs: dst=0 src0=0 src1=0 src2=0
	scratch_store_b128 off, v[68:71], off offset:384
	s_set_vgpr_msb 0x45                     ;  msbs: dst=1 src0=1 src1=1 src2=0
	v_fmac_f64_e32 v[134:135] /*v[390:391]*/, v[74:75] /*v[330:331]*/, v[74:75] /*v[330:331]*/
	s_set_vgpr_msb 0x41                     ;  msbs: dst=1 src0=1 src1=0 src2=0
	v_fmac_f64_e32 v[164:165] /*v[420:421]*/, v[74:75] /*v[330:331]*/, v[178:179]
	s_set_vgpr_msb 0x45                     ;  msbs: dst=1 src0=1 src1=1 src2=0
	v_fmac_f64_e32 v[160:161] /*v[416:417]*/, v[136:137] /*v[392:393]*/, v[136:137] /*v[392:393]*/
	v_mul_f64_e32 v[136:137] /*v[392:393]*/, v[86:87] /*v[342:343]*/, v[86:87] /*v[342:343]*/
	v_fmac_f64_e32 v[138:139] /*v[394:395]*/, v[84:85] /*v[340:341]*/, v[112:113] /*v[368:369]*/
	v_mul_f64_e32 v[86:87] /*v[342:343]*/, v[116:117] /*v[372:373]*/, v[80:81] /*v[336:337]*/
	s_set_vgpr_msb 4                        ;  msbs: dst=0 src0=0 src1=1 src2=0
	v_fmac_f64_e32 v[98:99], v[168:169], v[142:143] /*v[398:399]*/
	v_fmac_f64_e32 v[82:83], v[168:169], v[166:167] /*v[422:423]*/
	;; [unrolled: 1-line block ×10, first 2 shown]
	v_dual_mov_b32 v156, v66 :: v_dual_mov_b32 v157, v67
	s_set_vgpr_msb 0                        ;  msbs: dst=0 src0=0 src1=0 src2=0
	scratch_store_b128 off, v[52:55], off offset:480
	s_wait_xcnt 0x0
	s_set_vgpr_msb 4                        ;  msbs: dst=0 src0=0 src1=1 src2=0
	v_fmac_f64_e32 v[54:55], v[168:169], v[188:189] /*v[444:445]*/
	v_fmac_f64_e32 v[42:43], v[168:169], v[196:197] /*v[452:453]*/
	;; [unrolled: 1-line block ×8, first 2 shown]
	v_dual_mov_b32 v164, v146 :: v_dual_mov_b32 v165, v147
	v_fmac_f64_e32 v[124:125], v[168:169], v[106:107] /*v[362:363]*/
	v_fmac_f64_e32 v[96:97], v[168:169], v[140:141] /*v[396:397]*/
	v_dual_mov_b32 v148, v18 :: v_dual_mov_b32 v149, v19
	v_fmac_f64_e32 v[70:71], v[168:169], v[164:165] /*v[420:421]*/
	s_set_vgpr_msb 0x45                     ;  msbs: dst=1 src0=1 src1=1 src2=0
	v_fmac_f64_e32 v[160:161] /*v[416:417]*/, v[66:67] /*v[322:323]*/, v[66:67] /*v[322:323]*/
	v_fmac_f64_e32 v[136:137] /*v[392:393]*/, v[84:85] /*v[340:341]*/, v[84:85] /*v[340:341]*/
	v_mul_f64_e32 v[84:85] /*v[340:341]*/, v[116:117] /*v[372:373]*/, v[116:117] /*v[372:373]*/
	v_mul_f64_e32 v[116:117] /*v[372:373]*/, v[116:117] /*v[372:373]*/, v[60:61] /*v[316:317]*/
	v_fmac_f64_e32 v[86:87] /*v[342:343]*/, v[112:113] /*v[368:369]*/, v[78:79] /*v[334:335]*/
	s_set_vgpr_msb 0x41                     ;  msbs: dst=1 src0=1 src1=0 src2=0
	v_fmac_f64_e32 v[138:139] /*v[394:395]*/, v[26:27] /*v[282:283]*/, v[176:177]
	s_set_vgpr_msb 4                        ;  msbs: dst=0 src0=0 src1=1 src2=0
	v_fmac_f64_e32 v[104:105], v[168:169], v[122:123] /*v[378:379]*/
	v_fmac_f64_e32 v[92:93], v[168:169], v[144:145] /*v[400:401]*/
	;; [unrolled: 1-line block ×4, first 2 shown]
	s_set_vgpr_msb 0                        ;  msbs: dst=0 src0=0 src1=0 src2=0
	scratch_store_b128 off, v[144:147], off offset:16
	s_wait_xcnt 0x0
	s_set_vgpr_msb 4                        ;  msbs: dst=0 src0=0 src1=1 src2=0
	v_fmac_f64_e32 v[144:145], v[168:169], v[44:45] /*v[300:301]*/
	v_fmac_f64_e32 v[146:147], v[168:169], v[50:51] /*v[306:307]*/
	;; [unrolled: 1-line block ×6, first 2 shown]
	s_set_vgpr_msb 0                        ;  msbs: dst=0 src0=0 src1=0 src2=0
	scratch_store_b128 off, v[64:67], off offset:432
	s_wait_xcnt 0x0
	s_set_vgpr_msb 4                        ;  msbs: dst=0 src0=0 src1=1 src2=0
	v_fmac_f64_e32 v[66:67], v[168:169], v[174:175] /*v[430:431]*/
	v_fmac_f64_e32 v[60:61], v[168:169], v[176:177] /*v[432:433]*/
	;; [unrolled: 1-line block ×7, first 2 shown]
	s_set_vgpr_msb 0                        ;  msbs: dst=0 src0=0 src1=0 src2=0
	scratch_store_b128 off, v[16:19], off offset:848
	s_wait_xcnt 0x0
	s_set_vgpr_msb 4                        ;  msbs: dst=0 src0=0 src1=1 src2=0
	v_fmac_f64_e32 v[18:19], v[168:169], v[210:211] /*v[466:467]*/
	v_fmac_f64_e32 v[12:13], v[168:169], v[212:213] /*v[468:469]*/
	v_fmac_f64_e32 v[72:73], v[168:169], v[162:163] /*v[418:419]*/
	v_fmac_f64_e32 v[68:69], v[168:169], v[168:169] /*v[424:425]*/
	v_fmac_f64_e32 v[44:45], v[168:169], v[190:191] /*v[446:447]*/
	v_fmac_f64_e32 v[40:41], v[168:169], v[192:193] /*v[448:449]*/
	v_fmac_f64_e32 v[64:65], v[168:169], v[160:161] /*v[416:417]*/
	s_set_vgpr_msb 0x45                     ;  msbs: dst=1 src0=1 src1=1 src2=0
	v_fmac_f64_e32 v[136:137] /*v[392:393]*/, v[26:27] /*v[282:283]*/, v[26:27] /*v[282:283]*/
	v_fmac_f64_e32 v[84:85] /*v[340:341]*/, v[112:113] /*v[368:369]*/, v[112:113] /*v[368:369]*/
	;; [unrolled: 1-line block ×3, first 2 shown]
	v_mul_f64_e32 v[112:113] /*v[368:369]*/, v[80:81] /*v[336:337]*/, v[80:81] /*v[336:337]*/
	v_mul_f64_e32 v[80:81] /*v[336:337]*/, v[80:81] /*v[336:337]*/, v[60:61] /*v[316:317]*/
	s_set_vgpr_msb 0x44                     ;  msbs: dst=1 src0=0 src1=1 src2=0
	v_fmac_f64_e32 v[86:87] /*v[342:343]*/, v[176:177], v[24:25] /*v[280:281]*/
	s_set_vgpr_msb 4                        ;  msbs: dst=0 src0=0 src1=1 src2=0
	v_fmac_f64_e32 v[24:25], v[168:169], v[204:205] /*v[460:461]*/
	v_fmac_f64_e32 v[20:21], v[168:169], v[208:209] /*v[464:465]*/
	s_set_vgpr_msb 0                        ;  msbs: dst=0 src0=0 src1=0 src2=0
	scratch_store_b128 off, v[164:167], off offset:112
	s_wait_xcnt 0x0
	s_set_vgpr_msb 4                        ;  msbs: dst=0 src0=0 src1=1 src2=0
	v_fmac_f64_e32 v[166:167], v[168:169], v[92:93] /*v[348:349]*/
	v_fmac_f64_e32 v[120:121], v[168:169], v[96:97] /*v[352:353]*/
	;; [unrolled: 1-line block ×4, first 2 shown]
	s_set_vgpr_msb 0                        ;  msbs: dst=0 src0=0 src1=0 src2=0
	scratch_store_b128 off, v[156:159], off offset:528
	s_set_vgpr_msb 4                        ;  msbs: dst=0 src0=0 src1=1 src2=0
	v_fmac_f64_e32 v[48:49], v[168:169], v[138:139] /*v[394:395]*/
	v_fmac_f64_e32 v[50:51], v[168:169], v[186:187] /*v[442:443]*/
	s_set_vgpr_msb 0                        ;  msbs: dst=0 src0=0 src1=0 src2=0
	scratch_store_b128 off, v[148:151], off offset:944
	s_set_vgpr_msb 4                        ;  msbs: dst=0 src0=0 src1=1 src2=0
	v_fmac_f64_e32 v[8:9], v[168:169], v[214:215] /*v[470:471]*/
	s_set_vgpr_msb 0                        ;  msbs: dst=0 src0=0 src1=0 src2=0
	s_clause 0x2
	scratch_store_b128 off, v[100:103], off offset:224
	scratch_store_b128 off, v[36:39], off offset:640
	;; [unrolled: 1-line block ×3, first 2 shown]
	s_wait_xcnt 0x2
	s_set_vgpr_msb 4                        ;  msbs: dst=0 src0=0 src1=1 src2=0
	v_fmac_f64_e32 v[100:101], v[168:169], v[124:125] /*v[380:381]*/
	v_fmac_f64_e32 v[102:103], v[168:169], v[126:127] /*v[382:383]*/
	v_dual_mov_b32 v171, v115 :: v_dual_mov_b32 v172, v130
	v_dual_mov_b32 v173, v131 :: v_dual_mov_b32 v174, v110
	v_mov_b32_e32 v175, v111
	s_set_vgpr_msb 64                       ;  msbs: dst=1 src0=0 src1=0 src2=0
	v_mov_b64_e32 v[28:29] /*v[284:285]*/, v[130:131]
	v_mov_b64_e32 v[26:27] /*v[282:283]*/, v[128:129]
	v_dual_mov_b32 v28 /*v284*/, v108 :: v_dual_mov_b32 v29 /*v285*/, v109
	s_set_vgpr_msb 4                        ;  msbs: dst=0 src0=0 src1=1 src2=0
	v_dual_mov_b32 v156, v66 :: v_dual_mov_b32 v157, v67
	v_fmac_f64_e32 v[158:159], v[168:169], v[136:137] /*v[392:393]*/
	s_set_vgpr_msb 64                       ;  msbs: dst=1 src0=0 src1=0 src2=0
	v_fmac_f64_e32 v[84:85] /*v[340:341]*/, v[176:177], v[176:177]
	v_fmac_f64_e32 v[116:117] /*v[372:373]*/, v[176:177], v[178:179]
	s_set_vgpr_msb 0x45                     ;  msbs: dst=1 src0=1 src1=1 src2=0
	v_fmac_f64_e32 v[112:113] /*v[368:369]*/, v[78:79] /*v[334:335]*/, v[78:79] /*v[334:335]*/
	v_fmac_f64_e32 v[80:81] /*v[336:337]*/, v[78:79] /*v[334:335]*/, v[56:57] /*v[312:313]*/
	v_mul_f64_e32 v[78:79] /*v[334:335]*/, v[76:77] /*v[332:333]*/, v[76:77] /*v[332:333]*/
	v_mul_f64_e32 v[76:77] /*v[332:333]*/, v[76:77] /*v[332:333]*/, v[60:61] /*v[316:317]*/
	s_wait_xcnt 0x1
	s_set_vgpr_msb 4                        ;  msbs: dst=0 src0=0 src1=1 src2=0
	v_fmac_f64_e32 v[38:39], v[168:169], v[86:87] /*v[342:343]*/
	v_dual_mov_b32 v176, v126 :: v_dual_mov_b32 v177, v127
	v_dual_mov_b32 v148, v18 :: v_dual_mov_b32 v149, v19
	;; [unrolled: 1-line block ×3, first 2 shown]
	v_mov_b32_e32 v170, v114
	s_set_vgpr_msb 0                        ;  msbs: dst=0 src0=0 src1=0 src2=0
	scratch_store_b128 off, v[172:175], off offset:880
	s_wait_xcnt 0x0
	v_dual_mov_b32 v175, v71 :: v_dual_mov_b32 v172, v86
	v_dual_mov_b32 v173, v87 :: v_dual_mov_b32 v174, v70
	;; [unrolled: 1-line block ×3, first 2 shown]
	s_set_vgpr_msb 4                        ;  msbs: dst=0 src0=0 src1=1 src2=0
	v_fmac_f64_e32 v[36:37], v[168:169], v[84:85] /*v[340:341]*/
	v_fmac_f64_e32 v[30:31], v[168:169], v[116:117] /*v[372:373]*/
	s_set_vgpr_msb 0x45                     ;  msbs: dst=1 src0=1 src1=1 src2=0
	v_fmac_f64_e32 v[112:113] /*v[368:369]*/, v[24:25] /*v[280:281]*/, v[24:25] /*v[280:281]*/
	s_set_vgpr_msb 0x41                     ;  msbs: dst=1 src0=1 src1=0 src2=0
	v_fmac_f64_e32 v[80:81] /*v[336:337]*/, v[24:25] /*v[280:281]*/, v[178:179]
	s_set_vgpr_msb 0x45                     ;  msbs: dst=1 src0=1 src1=1 src2=0
	v_fmac_f64_e32 v[78:79] /*v[334:335]*/, v[68:69] /*v[324:325]*/, v[68:69] /*v[324:325]*/
	v_fmac_f64_e32 v[76:77] /*v[332:333]*/, v[68:69] /*v[324:325]*/, v[56:57] /*v[312:313]*/
	v_mul_f64_e32 v[68:69] /*v[324:325]*/, v[70:71] /*v[326:327]*/, v[70:71] /*v[326:327]*/
	v_mul_f64_e32 v[70:71] /*v[326:327]*/, v[70:71] /*v[326:327]*/, v[60:61] /*v[316:317]*/
	s_set_vgpr_msb 64                       ;  msbs: dst=1 src0=0 src1=0 src2=0
	v_dual_mov_b32 v24 /*v280*/, v82 :: v_dual_mov_b32 v25 /*v281*/, v83
	s_set_vgpr_msb 4                        ;  msbs: dst=0 src0=0 src1=1 src2=0
	v_dual_mov_b32 v152, v38 :: v_dual_mov_b32 v153, v39
	v_fmac_f64_e32 v[154:155], v[168:169], v[112:113] /*v[368:369]*/
	v_fmac_f64_e32 v[22:23], v[168:169], v[80:81] /*v[336:337]*/
	s_set_vgpr_msb 0x45                     ;  msbs: dst=1 src0=1 src1=1 src2=0
	v_fmac_f64_e32 v[78:79] /*v[334:335]*/, v[22:23] /*v[278:279]*/, v[22:23] /*v[278:279]*/
	s_set_vgpr_msb 0x41                     ;  msbs: dst=1 src0=1 src1=0 src2=0
	v_fmac_f64_e32 v[76:77] /*v[332:333]*/, v[22:23] /*v[278:279]*/, v[178:179]
	s_set_vgpr_msb 0x45                     ;  msbs: dst=1 src0=1 src1=1 src2=0
	v_fmac_f64_e32 v[68:69] /*v[324:325]*/, v[62:63] /*v[318:319]*/, v[62:63] /*v[318:319]*/
	v_fmac_f64_e32 v[70:71] /*v[326:327]*/, v[62:63] /*v[318:319]*/, v[56:57] /*v[312:313]*/
	v_mul_f64_e32 v[62:63] /*v[318:319]*/, v[64:65] /*v[320:321]*/, v[64:65] /*v[320:321]*/
	v_mul_f64_e32 v[64:65] /*v[320:321]*/, v[64:65] /*v[320:321]*/, v[60:61] /*v[316:317]*/
	s_set_vgpr_msb 64                       ;  msbs: dst=1 src0=0 src1=0 src2=0
	v_dual_mov_b32 v22 /*v278*/, v98 :: v_dual_mov_b32 v23 /*v279*/, v99
	s_set_vgpr_msb 4                        ;  msbs: dst=0 src0=0 src1=1 src2=0
	v_fmac_f64_e32 v[16:17], v[168:169], v[78:79] /*v[334:335]*/
	v_fmac_f64_e32 v[14:15], v[168:169], v[76:77] /*v[332:333]*/
	s_set_vgpr_msb 64                       ;  msbs: dst=1 src0=0 src1=0 src2=0
	v_fmac_f64_e32 v[68:69] /*v[324:325]*/, v[182:183], v[182:183]
	v_fmac_f64_e32 v[70:71] /*v[326:327]*/, v[182:183], v[178:179]
	s_set_vgpr_msb 0x45                     ;  msbs: dst=1 src0=1 src1=1 src2=0
	v_fmac_f64_e32 v[62:63] /*v[318:319]*/, v[58:59] /*v[314:315]*/, v[58:59] /*v[314:315]*/
	v_fmac_f64_e32 v[64:65] /*v[320:321]*/, v[58:59] /*v[314:315]*/, v[56:57] /*v[312:313]*/
	v_mul_f64_e32 v[58:59] /*v[314:315]*/, v[60:61] /*v[316:317]*/, v[60:61] /*v[316:317]*/
	s_set_vgpr_msb 4                        ;  msbs: dst=0 src0=0 src1=1 src2=0
	v_dual_mov_b32 v182, v78 :: v_dual_mov_b32 v183, v79
	v_fmac_f64_e32 v[150:151], v[168:169], v[68:69] /*v[324:325]*/
	v_fmac_f64_e32 v[10:11], v[168:169], v[70:71] /*v[326:327]*/
	s_set_vgpr_msb 64                       ;  msbs: dst=1 src0=0 src1=0 src2=0
	v_fmac_f64_e32 v[62:63] /*v[318:319]*/, v[180:181], v[180:181]
	v_fmac_f64_e32 v[64:65] /*v[320:321]*/, v[180:181], v[178:179]
	s_set_vgpr_msb 0x45                     ;  msbs: dst=1 src0=1 src1=1 src2=0
	v_fmac_f64_e32 v[58:59] /*v[314:315]*/, v[56:57] /*v[312:313]*/, v[56:57] /*v[312:313]*/
	s_set_vgpr_msb 4                        ;  msbs: dst=0 src0=0 src1=1 src2=0
	v_dual_mov_b32 v180, v94 :: v_dual_mov_b32 v181, v95
	s_delay_alu instid0(VALU_DEP_4) | instskip(NEXT) | instid1(VALU_DEP_4)
	v_fmac_f64_e32 v[4:5], v[168:169], v[62:63] /*v[318:319]*/
	v_fmac_f64_e32 v[6:7], v[168:169], v[64:65] /*v[320:321]*/
	s_set_vgpr_msb 64                       ;  msbs: dst=1 src0=0 src1=0 src2=0
	s_delay_alu instid0(VALU_DEP_4)
	v_fmac_f64_e32 v[58:59] /*v[314:315]*/, v[178:179], v[178:179]
	s_set_vgpr_msb 0                        ;  msbs: dst=0 src0=0 src1=0 src2=0
	v_dual_mov_b32 v178, v106 :: v_dual_mov_b32 v179, v107
	scratch_store_b128 off, v[176:179], off offset:1072
	s_wait_xcnt 0x0
	v_dual_mov_b32 v176, v138 :: v_dual_mov_b32 v177, v139
	v_dual_mov_b32 v178, v118 :: v_dual_mov_b32 v179, v119
	v_dual_mov_b32 v0, v6 :: v_dual_mov_b32 v1, v7
	s_set_vgpr_msb 4                        ;  msbs: dst=0 src0=0 src1=1 src2=0
	v_fmac_f64_e32 v[2:3], v[168:169], v[58:59] /*v[314:315]*/
	v_dual_mov_b32 v168, v134 :: v_dual_mov_b32 v169, v135
	s_set_vgpr_msb 0                        ;  msbs: dst=0 src0=0 src1=0 src2=0
	s_clause 0x3
	scratch_store_b128 off, v[168:171], off offset:688
	scratch_store_b128 off, v[176:179], off offset:496
	s_set_vgpr_msb 4                        ;  msbs: dst=0 src0=0 src1=1 src2=0
	scratch_store_b128 off, v[22:25] /*v[278:281]*/, off offset:512
	s_wait_xcnt 0x1
	v_mov_b64_e32 v[178:179], v[138:139]
	v_dual_mov_b32 v168, v90 :: v_dual_mov_b32 v169, v91
	v_dual_mov_b32 v170, v74 :: v_dual_mov_b32 v171, v75
	s_set_vgpr_msb 0                        ;  msbs: dst=0 src0=0 src1=0 src2=0
	s_clause 0x2
	scratch_store_b128 off, v[180:183], off offset:704
	s_set_vgpr_msb 4                        ;  msbs: dst=0 src0=0 src1=1 src2=0
	scratch_store_b128 off, v[26:29] /*v[282:285]*/, off offset:784
	v_dual_mov_b32 v178, v58 :: v_dual_mov_b32 v179, v59
	s_wait_xcnt 0x1
	v_dual_mov_b32 v180, v46 :: v_dual_mov_b32 v181, v47
	s_set_vgpr_msb 0                        ;  msbs: dst=0 src0=0 src1=0 src2=0
	scratch_store_b128 off, v[168:171], off offset:896
	s_wait_xcnt 0x0
	v_dual_mov_b32 v168, v54 :: v_dual_mov_b32 v169, v55
	v_dual_mov_b32 v170, v42 :: v_dual_mov_b32 v171, v43
	scratch_store_b128 off, v[172:175], off offset:1088
	s_wait_xcnt 0x0
	v_mov_b32_e32 v175, v27
	scratch_store_b128 off, v[178:181], off offset:912
	s_wait_xcnt 0x0
	v_dual_mov_b32 v178, v30 :: v_dual_mov_b32 v179, v31
	v_dual_mov_b32 v180, v22 :: v_dual_mov_b32 v181, v23
	s_set_vgpr_msb 64                       ;  msbs: dst=1 src0=0 src1=0 src2=0
	v_mov_b64_e32 v[24:25] /*v[280:281]*/, v[134:135]
	s_set_vgpr_msb 0                        ;  msbs: dst=0 src0=0 src1=0 src2=0
	v_mov_b64_e32 v[176:177], v[136:137]
	s_set_vgpr_msb 64                       ;  msbs: dst=1 src0=0 src1=0 src2=0
	v_mov_b64_e32 v[22:23] /*v[278:279]*/, v[132:133]
	v_mov_b32_e32 v24 /*v280*/, v112
	scratch_store_b128 off, v[178:181], off offset:1120
	s_wait_xcnt 0x0
	s_set_vgpr_msb 0                        ;  msbs: dst=0 src0=0 src1=0 src2=0
	v_dual_mov_b32 v178, v116 :: v_dual_mov_b32 v179, v117
	s_set_vgpr_msb 64                       ;  msbs: dst=1 src0=0 src1=0 src2=0
	v_mov_b32_e32 v25 /*v281*/, v113
	s_set_vgpr_msb 0                        ;  msbs: dst=0 src0=0 src1=0 src2=0
	v_dual_mov_b32 v172, v34 :: v_dual_mov_b32 v173, v35
	v_mov_b32_e32 v174, v26
	scratch_store_b128 off, v[168:171], off offset:1104
	s_wait_xcnt 0x0
	v_mov_b64_e32 v[170:171], v[98:99]
	s_clause 0x2
	scratch_store_b128 off, v[176:179], off offset:400
	s_set_vgpr_msb 4                        ;  msbs: dst=0 src0=0 src1=1 src2=0
	scratch_store_b128 off, v[22:25] /*v[278:281]*/, off offset:592
	s_wait_xcnt 0x0
	s_set_vgpr_msb 64                       ;  msbs: dst=1 src0=0 src1=0 src2=0
	v_mov_b64_e32 v[24:25] /*v[280:281]*/, v[126:127]
	s_set_vgpr_msb 0                        ;  msbs: dst=0 src0=0 src1=0 src2=0
	v_mov_b64_e32 v[168:169], v[96:97]
	s_set_vgpr_msb 64                       ;  msbs: dst=1 src0=0 src1=0 src2=0
	v_mov_b64_e32 v[22:23] /*v[278:279]*/, v[124:125]
	v_dual_mov_b32 v24 /*v280*/, v104 :: v_dual_mov_b32 v25 /*v281*/, v105
	scratch_store_b128 off, v[172:175], off offset:928
	s_wait_xcnt 0x0
	s_set_vgpr_msb 4                        ;  msbs: dst=0 src0=0 src1=1 src2=0
	v_mov_b64_e32 v[174:175], v[94:95]
	v_mov_b64_e32 v[172:173], v[92:93]
	v_dual_mov_b32 v170, v80 :: v_dual_mov_b32 v171, v81
	v_dual_mov_b32 v174, v76 :: v_dual_mov_b32 v175, v77
	v_mov_b64_e32 v[178:179], v[90:91]
	v_mov_b64_e32 v[176:177], v[88:89]
	;; [unrolled: 1-line block ×4, first 2 shown]
	s_clause 0x9
	scratch_store_b128 off, v[22:25] /*v[278:281]*/, off offset:976
	s_set_vgpr_msb 0                        ;  msbs: dst=0 src0=0 src1=0 src2=0
	scratch_store_b128 off, v[144:147], off offset:16
	scratch_store_b128 off, v[140:143], off offset:32
	;; [unrolled: 1-line block ×8, first 2 shown]
	s_wait_xcnt 0x1
	v_mov_b64_e32 v[170:171], v[142:143]
	v_dual_mov_b32 v178, v72 :: v_dual_mov_b32 v179, v73
	s_wait_xcnt 0x0
	v_mov_b64_e32 v[172:173], v[58:59]
	v_dual_mov_b32 v182, v68 :: v_dual_mov_b32 v183, v69
	v_mov_b64_e32 v[170:171], v[56:57]
	v_dual_mov_b32 v172, v44 :: v_dual_mov_b32 v173, v45
	scratch_store_b128 off, v[176:179], off offset:800
	s_wait_xcnt 0x0
	v_mov_b64_e32 v[176:177], v[54:55]
	v_mov_b64_e32 v[174:175], v[52:53]
	v_dual_mov_b32 v176, v40 :: v_dual_mov_b32 v177, v41
	scratch_store_b128 off, v[180:183], off offset:992
	s_wait_xcnt 0x0
	v_mov_b64_e32 v[180:181], v[34:35]
	v_mov_b64_e32 v[178:179], v[32:33]
	scratch_store_b128 off, v[170:173], off offset:816
	s_wait_xcnt 0x0
	v_mov_b64_e32 v[172:173], v[30:31]
	v_dual_mov_b32 v180, v24 :: v_dual_mov_b32 v181, v25
	v_mov_b64_e32 v[170:171], v[28:29]
	v_dual_mov_b32 v172, v20 :: v_dual_mov_b32 v173, v21
	v_mov_b64_e32 v[168:169], v[140:141]
	s_clause 0x9
	scratch_store_b128 off, v[174:177], off offset:1008
	scratch_store_b128 off, v[96:99], off offset:240
	scratch_store_b128 off, v[92:95], off offset:256
	scratch_store_b128 off, v[88:91], off offset:272
	scratch_store_b128 off, v[84:87], off offset:288
	scratch_store_b128 off, v[64:67], off offset:432
	scratch_store_b128 off, v[60:63], off offset:448
	scratch_store_b128 off, v[56:59], off offset:464
	scratch_store_b128 off, v[52:55], off offset:480
	scratch_store_b128 off, v[178:181], off offset:832
	s_wait_xcnt 0x0
	v_mov_b64_e32 v[180:181], v[62:63]
	s_clause 0x4
	scratch_store_b128 off, v[170:173], off offset:1024
	scratch_store_b128 off, v[32:35], off offset:656
	;; [unrolled: 1-line block ×5, first 2 shown]
	s_wait_xcnt 0x4
	v_dual_mov_b32 v170, v120 :: v_dual_mov_b32 v171, v121
	v_dual_mov_b32 v182, v50 :: v_dual_mov_b32 v183, v51
	v_mov_b64_e32 v[178:179], v[60:61]
	s_set_vgpr_msb 64                       ;  msbs: dst=1 src0=0 src1=0 src2=0
	v_mov_b32_e32 v22 /*v278*/, v14
	scratch_store_b128 off, v[168:171], off offset:208
	s_wait_xcnt 0x0
	s_set_vgpr_msb 0                        ;  msbs: dst=0 src0=0 src1=0 src2=0
	v_mov_b64_e32 v[170:171], v[14:15]
	scratch_store_b128 off, v[180:183], off offset:720
	s_wait_xcnt 0x0
	v_dual_mov_b32 v180, v48 :: v_dual_mov_b32 v181, v49
	v_mov_b64_e32 v[168:169], v[12:13]
	s_set_vgpr_msb 64                       ;  msbs: dst=1 src0=0 src1=0 src2=0
	v_dual_mov_b32 v23 /*v279*/, v15 :: v_dual_mov_b32 v24 /*v280*/, v10
	v_mov_b32_e32 v25 /*v281*/, v11
	s_set_vgpr_msb 0                        ;  msbs: dst=0 src0=0 src1=0 src2=0
	v_dual_mov_b32 v170, v8 :: v_dual_mov_b32 v171, v9
	v_dual_mov_b32 v174, v142 :: v_dual_mov_b32 v175, v143
	s_clause 0xd
	scratch_store_b128 off, v[116:119], off offset:144
	scratch_store_b128 off, v[112:115], off offset:160
	;; [unrolled: 1-line block ×14, first 2 shown]
	v_dual_mov_b32 v176, v122 :: v_dual_mov_b32 v177, v123
	s_clause 0xf
	scratch_store_b128 off, v[156:159], off offset:528
	scratch_store_b128 off, v[48:51], off offset:544
	;; [unrolled: 1-line block ×7, first 2 shown]
	s_set_vgpr_msb 4                        ;  msbs: dst=0 src0=0 src1=1 src2=0
	scratch_store_b128 off, v[22:25] /*v[278:281]*/, off offset:1136
	s_set_vgpr_msb 0                        ;  msbs: dst=0 src0=0 src1=0 src2=0
	scratch_store_b128 off, v[168:171], off offset:1040
	scratch_store_b128 off, v[4:7], off offset:1056
	scratch_store_b128 off, v[174:177], off offset:304
	scratch_store_b128 off, v[160:163], off offset:320
	scratch_store_b128 off, v[152:155], off offset:736
	scratch_store_b128 off, v[0:3], off offset:1152
	s_cbranch_vccz .LBB0_4
; %bb.5:                                ;   in Loop: Header=BB0_3 Depth=2
	s_mov_b64 s[6:7], 0x3fe93cd3a2c8198e
	s_mov_b32 s8, 8
	s_and_b32 vcc_lo, exec_lo, s12
	s_mov_b32 s12, 0
	s_cbranch_vccz .LBB0_3
; %bb.6:                                ;   in Loop: Header=BB0_2 Depth=1
	s_mov_b64 s[2:3], 0x3fe93cd3a2c8198e
	s_mov_b32 s10, 8
	s_and_b32 vcc_lo, exec_lo, s11
	s_mov_b32 s8, 0
	s_cbranch_vccz .LBB0_2
; %bb.7:
	s_wait_xcnt 0x0
	v_mov_b64_e32 v[0:1], 0
	s_mov_b32 s0, 0
.LBB0_8:                                ; =>This Inner Loop Header: Depth=1
	s_wait_xcnt 0x0
	s_add_co_i32 s1, s0, 16
	s_addk_co_i32 s0, 0x120
	s_clause 0x10
	scratch_load_b128 v[2:5], off, s1
	scratch_load_b128 v[6:9], off, s1 offset:96
	scratch_load_b128 v[10:13], off, s1 offset:192
	;; [unrolled: 1-line block ×16, first 2 shown]
	s_cmp_lg_u32 s0, 0x480
	s_wait_loadcnt 0x10
	v_add_f64_e32 v[2:3], 0, v[2:3]
	s_wait_loadcnt 0xf
	v_add_f64_e32 v[6:7], 0, v[6:7]
	;; [unrolled: 2-line block ×3, first 2 shown]
	s_delay_alu instid0(VALU_DEP_3)
	v_add_f64_e32 v[70:71], v[2:3], v[4:5]
	scratch_load_b128 v[2:5], off, s1 offset:272
	v_add_f64_e32 v[6:7], v[6:7], v[8:9]
	v_add_f64_e32 v[10:11], v[10:11], v[12:13]
	s_wait_loadcnt 0xe
	v_add_f64_e32 v[8:9], v[70:71], v[14:15]
	s_wait_loadcnt 0xd
	s_delay_alu instid0(VALU_DEP_3) | instskip(SKIP_1) | instid1(VALU_DEP_3)
	v_add_f64_e32 v[6:7], v[6:7], v[18:19]
	s_wait_loadcnt 0xc
	v_add_f64_e32 v[10:11], v[10:11], v[22:23]
	s_delay_alu instid0(VALU_DEP_3) | instskip(NEXT) | instid1(VALU_DEP_3)
	v_add_f64_e32 v[8:9], v[8:9], v[16:17]
	v_add_f64_e32 v[6:7], v[6:7], v[20:21]
	s_delay_alu instid0(VALU_DEP_3) | instskip(SKIP_1) | instid1(VALU_DEP_3)
	v_add_f64_e32 v[10:11], v[10:11], v[24:25]
	s_wait_loadcnt 0xb
	v_add_f64_e32 v[8:9], v[8:9], v[26:27]
	s_wait_loadcnt 0xa
	s_delay_alu instid0(VALU_DEP_3) | instskip(SKIP_1) | instid1(VALU_DEP_3)
	v_add_f64_e32 v[6:7], v[6:7], v[30:31]
	s_wait_loadcnt 0x9
	v_add_f64_e32 v[10:11], v[10:11], v[34:35]
	s_delay_alu instid0(VALU_DEP_3) | instskip(NEXT) | instid1(VALU_DEP_3)
	v_add_f64_e32 v[8:9], v[8:9], v[28:29]
	v_add_f64_e32 v[6:7], v[6:7], v[32:33]
	s_delay_alu instid0(VALU_DEP_3) | instskip(SKIP_1) | instid1(VALU_DEP_3)
	;; [unrolled: 12-line block ×4, first 2 shown]
	v_add_f64_e32 v[10:11], v[10:11], v[60:61]
	s_wait_loadcnt 0x2
	v_add_f64_e32 v[8:9], v[8:9], v[62:63]
	s_wait_loadcnt 0x1
	s_delay_alu instid0(VALU_DEP_3) | instskip(NEXT) | instid1(VALU_DEP_2)
	v_add_f64_e32 v[6:7], v[6:7], v[66:67]
	v_add_f64_e32 v[8:9], v[8:9], v[64:65]
	s_wait_loadcnt 0x0
	s_delay_alu instid0(VALU_DEP_4) | instskip(NEXT) | instid1(VALU_DEP_3)
	v_add_f64_e32 v[2:3], v[10:11], v[2:3]
	v_add_f64_e32 v[6:7], v[6:7], v[68:69]
	s_delay_alu instid0(VALU_DEP_3) | instskip(NEXT) | instid1(VALU_DEP_3)
	v_add_f64_e32 v[0:1], v[0:1], v[8:9]
	v_add_f64_e32 v[2:3], v[2:3], v[4:5]
	s_delay_alu instid0(VALU_DEP_2) | instskip(NEXT) | instid1(VALU_DEP_1)
	v_add_f64_e32 v[0:1], v[0:1], v[6:7]
	v_add_f64_e32 v[0:1], v[0:1], v[2:3]
	s_cbranch_scc1 .LBB0_8
; %bb.9:
	v_lshl_add_u64 v[2:3], v[184:185], 3, s[4:5]
	global_store_b64 v[2:3], v[0:1], off
.LBB0_10:
	s_sendmsg sendmsg(MSG_DEALLOC_VGPRS)
	s_endpgm
	.section	.rodata,"a",@progbits
	.p2align	6, 0x0
	.amdhsa_kernel _ZN8rajaperf4apps6edge3dILm256EEEvPdS2_S2_S2_S2_S2_S2_S2_S2_S2_S2_S2_S2_S2_S2_S2_S2_S2_S2_S2_S2_S2_S2_S2_S2_ll
		.amdhsa_group_segment_fixed_size 0
		.amdhsa_private_segment_fixed_size 1184
		.amdhsa_kernarg_size 216
		.amdhsa_user_sgpr_count 2
		.amdhsa_user_sgpr_dispatch_ptr 0
		.amdhsa_user_sgpr_queue_ptr 0
		.amdhsa_user_sgpr_kernarg_segment_ptr 1
		.amdhsa_user_sgpr_dispatch_id 0
		.amdhsa_user_sgpr_kernarg_preload_length 0
		.amdhsa_user_sgpr_kernarg_preload_offset 0
		.amdhsa_user_sgpr_private_segment_size 0
		.amdhsa_wavefront_size32 1
		.amdhsa_uses_dynamic_stack 0
		.amdhsa_enable_private_segment 1
		.amdhsa_system_sgpr_workgroup_id_x 1
		.amdhsa_system_sgpr_workgroup_id_y 0
		.amdhsa_system_sgpr_workgroup_id_z 0
		.amdhsa_system_sgpr_workgroup_info 0
		.amdhsa_system_vgpr_workitem_id 0
		.amdhsa_next_free_vgpr 472
		.amdhsa_next_free_sgpr 68
		.amdhsa_named_barrier_count 0
		.amdhsa_reserve_vcc 1
		.amdhsa_float_round_mode_32 0
		.amdhsa_float_round_mode_16_64 0
		.amdhsa_float_denorm_mode_32 3
		.amdhsa_float_denorm_mode_16_64 3
		.amdhsa_fp16_overflow 0
		.amdhsa_memory_ordered 1
		.amdhsa_forward_progress 1
		.amdhsa_inst_pref_size 98
		.amdhsa_round_robin_scheduling 0
		.amdhsa_exception_fp_ieee_invalid_op 0
		.amdhsa_exception_fp_denorm_src 0
		.amdhsa_exception_fp_ieee_div_zero 0
		.amdhsa_exception_fp_ieee_overflow 0
		.amdhsa_exception_fp_ieee_underflow 0
		.amdhsa_exception_fp_ieee_inexact 0
		.amdhsa_exception_int_div_zero 0
	.end_amdhsa_kernel
	.section	.text._ZN8rajaperf4apps6edge3dILm256EEEvPdS2_S2_S2_S2_S2_S2_S2_S2_S2_S2_S2_S2_S2_S2_S2_S2_S2_S2_S2_S2_S2_S2_S2_S2_ll,"axG",@progbits,_ZN8rajaperf4apps6edge3dILm256EEEvPdS2_S2_S2_S2_S2_S2_S2_S2_S2_S2_S2_S2_S2_S2_S2_S2_S2_S2_S2_S2_S2_S2_S2_S2_ll,comdat
.Lfunc_end0:
	.size	_ZN8rajaperf4apps6edge3dILm256EEEvPdS2_S2_S2_S2_S2_S2_S2_S2_S2_S2_S2_S2_S2_S2_S2_S2_S2_S2_S2_S2_S2_S2_S2_S2_ll, .Lfunc_end0-_ZN8rajaperf4apps6edge3dILm256EEEvPdS2_S2_S2_S2_S2_S2_S2_S2_S2_S2_S2_S2_S2_S2_S2_S2_S2_S2_S2_S2_S2_S2_S2_S2_ll
                                        ; -- End function
	.set _ZN8rajaperf4apps6edge3dILm256EEEvPdS2_S2_S2_S2_S2_S2_S2_S2_S2_S2_S2_S2_S2_S2_S2_S2_S2_S2_S2_S2_S2_S2_S2_S2_ll.num_vgpr, 472
	.set _ZN8rajaperf4apps6edge3dILm256EEEvPdS2_S2_S2_S2_S2_S2_S2_S2_S2_S2_S2_S2_S2_S2_S2_S2_S2_S2_S2_S2_S2_S2_S2_S2_ll.num_agpr, 0
	.set _ZN8rajaperf4apps6edge3dILm256EEEvPdS2_S2_S2_S2_S2_S2_S2_S2_S2_S2_S2_S2_S2_S2_S2_S2_S2_S2_S2_S2_S2_S2_S2_S2_ll.numbered_sgpr, 68
	.set _ZN8rajaperf4apps6edge3dILm256EEEvPdS2_S2_S2_S2_S2_S2_S2_S2_S2_S2_S2_S2_S2_S2_S2_S2_S2_S2_S2_S2_S2_S2_S2_S2_ll.num_named_barrier, 0
	.set _ZN8rajaperf4apps6edge3dILm256EEEvPdS2_S2_S2_S2_S2_S2_S2_S2_S2_S2_S2_S2_S2_S2_S2_S2_S2_S2_S2_S2_S2_S2_S2_S2_ll.private_seg_size, 1184
	.set _ZN8rajaperf4apps6edge3dILm256EEEvPdS2_S2_S2_S2_S2_S2_S2_S2_S2_S2_S2_S2_S2_S2_S2_S2_S2_S2_S2_S2_S2_S2_S2_S2_ll.uses_vcc, 1
	.set _ZN8rajaperf4apps6edge3dILm256EEEvPdS2_S2_S2_S2_S2_S2_S2_S2_S2_S2_S2_S2_S2_S2_S2_S2_S2_S2_S2_S2_S2_S2_S2_S2_ll.uses_flat_scratch, 1
	.set _ZN8rajaperf4apps6edge3dILm256EEEvPdS2_S2_S2_S2_S2_S2_S2_S2_S2_S2_S2_S2_S2_S2_S2_S2_S2_S2_S2_S2_S2_S2_S2_S2_ll.has_dyn_sized_stack, 0
	.set _ZN8rajaperf4apps6edge3dILm256EEEvPdS2_S2_S2_S2_S2_S2_S2_S2_S2_S2_S2_S2_S2_S2_S2_S2_S2_S2_S2_S2_S2_S2_S2_S2_ll.has_recursion, 0
	.set _ZN8rajaperf4apps6edge3dILm256EEEvPdS2_S2_S2_S2_S2_S2_S2_S2_S2_S2_S2_S2_S2_S2_S2_S2_S2_S2_S2_S2_S2_S2_S2_S2_ll.has_indirect_call, 0
	.section	.AMDGPU.csdata,"",@progbits
; Kernel info:
; codeLenInByte = 12444
; TotalNumSgprs: 70
; NumVgprs: 472
; ScratchSize: 1184
; MemoryBound: 0
; FloatMode: 240
; IeeeMode: 1
; LDSByteSize: 0 bytes/workgroup (compile time only)
; SGPRBlocks: 0
; VGPRBlocks: 29
; NumSGPRsForWavesPerEU: 70
; NumVGPRsForWavesPerEU: 472
; NamedBarCnt: 0
; Occupancy: 2
; WaveLimiterHint : 1
; COMPUTE_PGM_RSRC2:SCRATCH_EN: 1
; COMPUTE_PGM_RSRC2:USER_SGPR: 2
; COMPUTE_PGM_RSRC2:TRAP_HANDLER: 0
; COMPUTE_PGM_RSRC2:TGID_X_EN: 1
; COMPUTE_PGM_RSRC2:TGID_Y_EN: 0
; COMPUTE_PGM_RSRC2:TGID_Z_EN: 0
; COMPUTE_PGM_RSRC2:TIDIG_COMP_CNT: 0
	.section	.text._ZN8rajaperf17lambda_hip_forallILm256EZNS_4apps6EDGE3D17runHipVariantImplILm256EEEvNS_9VariantIDEEUllE_EEvllT0_,"axG",@progbits,_ZN8rajaperf17lambda_hip_forallILm256EZNS_4apps6EDGE3D17runHipVariantImplILm256EEEvNS_9VariantIDEEUllE_EEvllT0_,comdat
	.protected	_ZN8rajaperf17lambda_hip_forallILm256EZNS_4apps6EDGE3D17runHipVariantImplILm256EEEvNS_9VariantIDEEUllE_EEvllT0_ ; -- Begin function _ZN8rajaperf17lambda_hip_forallILm256EZNS_4apps6EDGE3D17runHipVariantImplILm256EEEvNS_9VariantIDEEUllE_EEvllT0_
	.globl	_ZN8rajaperf17lambda_hip_forallILm256EZNS_4apps6EDGE3D17runHipVariantImplILm256EEEvNS_9VariantIDEEUllE_EEvllT0_
	.p2align	8
	.type	_ZN8rajaperf17lambda_hip_forallILm256EZNS_4apps6EDGE3D17runHipVariantImplILm256EEEvNS_9VariantIDEEUllE_EEvllT0_,@function
_ZN8rajaperf17lambda_hip_forallILm256EZNS_4apps6EDGE3D17runHipVariantImplILm256EEEvNS_9VariantIDEEUllE_EEvllT0_: ; @_ZN8rajaperf17lambda_hip_forallILm256EZNS_4apps6EDGE3D17runHipVariantImplILm256EEEvNS_9VariantIDEEUllE_EEvllT0_
; %bb.0:
	s_load_b128 s[4:7], s[0:1], 0x0
	s_bfe_u32 s2, ttmp6, 0x4000c
	s_and_b32 s3, ttmp6, 15
	s_add_co_i32 s2, s2, 1
	s_getreg_b32 s8, hwreg(HW_REG_IB_STS2, 6, 4)
	s_mul_i32 s2, ttmp9, s2
	s_mov_b32 s21, 0
	s_add_co_i32 s3, s3, s2
	s_cmp_eq_u32 s8, 0
	v_mov_b32_e32 v1, 0
	s_cselect_b32 s20, ttmp9, s3
	s_delay_alu instid0(SALU_CYCLE_1) | instskip(SKIP_2) | instid1(SALU_CYCLE_1)
	s_lshl_b64 s[2:3], s[20:21], 8
	s_wait_kmcnt 0x0
	s_add_nc_u64 s[2:3], s[4:5], s[2:3]
	v_add_nc_u64_e32 v[184:185], s[2:3], v[0:1]
	s_mov_b32 s2, exec_lo
	s_delay_alu instid0(VALU_DEP_1)
	v_cmpx_gt_i64_e64 s[6:7], v[184:185]
	s_cbranch_execz .LBB1_10
; %bb.1:
	s_clause 0x2
	s_load_b512 s[52:67], s[0:1], 0x10
	s_load_b512 s[36:51], s[0:1], 0x50
	;; [unrolled: 1-line block ×3, first 2 shown]
	v_lshlrev_b64_e32 v[0:1], 3, v[184:185]
	s_wait_xcnt 0x0
	s_load_b64 s[0:1], s[0:1], 0xd0
	s_mov_b32 s22, s21
	s_mov_b32 s23, s21
	;; [unrolled: 1-line block ×3, first 2 shown]
	v_mov_b64_e32 v[170:171], s[22:23]
	v_mov_b64_e32 v[34:35], 0
	;; [unrolled: 1-line block ×12, first 2 shown]
	s_wait_kmcnt 0x0
	v_add_nc_u64_e32 v[2:3], s[52:53], v[0:1]
	v_add_nc_u64_e32 v[4:5], s[54:55], v[0:1]
	v_add_nc_u64_e32 v[6:7], s[56:57], v[0:1]
	v_add_nc_u64_e32 v[8:9], s[58:59], v[0:1]
	v_add_nc_u64_e32 v[10:11], s[60:61], v[0:1]
	v_add_nc_u64_e32 v[12:13], s[62:63], v[0:1]
	v_add_nc_u64_e32 v[14:15], s[64:65], v[0:1]
	v_add_nc_u64_e32 v[16:17], s[66:67], v[0:1]
	v_add_nc_u64_e32 v[18:19], s[36:37], v[0:1]
	v_add_nc_u64_e32 v[20:21], s[38:39], v[0:1]
	v_add_nc_u64_e32 v[22:23], s[40:41], v[0:1]
	v_add_nc_u64_e32 v[24:25], s[42:43], v[0:1]
	v_add_nc_u64_e32 v[26:27], s[44:45], v[0:1]
	v_add_nc_u64_e32 v[28:29], s[46:47], v[0:1]
	v_add_nc_u64_e32 v[30:31], s[48:49], v[0:1]
	v_add_nc_u64_e32 v[32:33], s[50:51], v[0:1]
	global_load_b64 v[100:101], v[2:3], off
	global_load_b64 v[104:105], v[4:5], off
	;; [unrolled: 1-line block ×15, first 2 shown]
                                        ; kill: killed $vgpr10_vgpr11
                                        ; kill: killed $vgpr22_vgpr23
                                        ; kill: killed $vgpr8_vgpr9
                                        ; kill: killed $vgpr20_vgpr21
                                        ; kill: killed $vgpr6_vgpr7
                                        ; kill: killed $vgpr18_vgpr19
                                        ; kill: killed $vgpr30_vgpr31
                                        ; kill: killed $vgpr4_vgpr5
                                        ; kill: killed $vgpr16_vgpr17
                                        ; kill: killed $vgpr28_vgpr29
                                        ; kill: killed $vgpr2_vgpr3
                                        ; kill: killed $vgpr14_vgpr15
                                        ; kill: killed $vgpr26_vgpr27
                                        ; kill: killed $vgpr12_vgpr13
                                        ; kill: killed $vgpr24_vgpr25
	global_load_b64 v[132:133], v[32:33], off
	s_wait_xcnt 0xe
	v_add_nc_u64_e32 v[4:5], s[6:7], v[0:1]
	s_wait_xcnt 0xd
	v_add_nc_u64_e32 v[6:7], s[14:15], v[0:1]
	v_add_nc_u64_e32 v[2:3], s[4:5], v[0:1]
	s_wait_xcnt 0xc
	v_add_nc_u64_e32 v[8:9], s[8:9], v[0:1]
	s_wait_xcnt 0xa
	v_add_nc_u64_e32 v[12:13], s[16:17], v[0:1]
	v_add_nc_u64_e32 v[10:11], s[10:11], v[0:1]
	s_wait_xcnt 0x9
	v_add_nc_u64_e32 v[14:15], s[12:13], v[0:1]
	v_add_nc_u64_e32 v[0:1], s[18:19], v[0:1]
	global_load_b64 v[134:135], v[4:5], off
	global_load_b64 v[136:137], v[6:7], off
	;; [unrolled: 1-line block ×8, first 2 shown]
	s_wait_xcnt 0x5
	v_mov_b64_e32 v[2:3], 0
	s_wait_xcnt 0x0
	v_mov_b64_e32 v[0:1], 0.5
	v_mov_b64_e32 v[6:7], 0
	v_mov_b64_e32 v[10:11], 0
	;; [unrolled: 1-line block ×44, first 2 shown]
	s_mov_b32 s10, 0
	s_mov_b64 s[4:5], 0x3fcb0cb174df99c7
	s_mov_b32 s8, -1
	s_mov_b64 s[2:3], 0x358dee7a4ad4b81f
	s_clause 0x2b
	scratch_store_b64 off, v[0:1], off
	scratch_store_b64 off, v[0:1], off offset:8
	scratch_store_b128 off, v[168:171], off offset:16
	scratch_store_b128 off, v[168:171], off offset:32
	;; [unrolled: 1-line block ×31, first 2 shown]
	scratch_store_b64 off, v[2:3], off offset:200
	scratch_store_b128 off, v[168:171], off offset:376
	scratch_store_b64 off, v[2:3], off offset:392
	scratch_store_b128 off, v[168:171], off offset:568
	scratch_store_b64 off, v[2:3], off offset:584
	scratch_store_b128 off, v[168:171], off offset:760
	scratch_store_b64 off, v[2:3], off offset:776
	scratch_store_b128 off, v[168:171], off offset:952
	scratch_store_b64 off, v[2:3], off offset:968
	scratch_store_b128 off, v[168:171], off offset:1056
	scratch_store_b64 off, v[2:3], off offset:1160
	s_wait_loadcnt 0x16
	v_add_f64_e64 v[202:203], v[104:105], -v[100:101]
	s_wait_loadcnt 0x15
	v_add_f64_e64 v[208:209], v[106:107], -v[104:105]
	;; [unrolled: 2-line block ×7, first 2 shown]
	v_add_f64_e64 v[206:207], v[106:107], -v[108:109]
	v_add_f64_e64 v[210:211], v[112:113], -v[110:111]
	;; [unrolled: 1-line block ×4, first 2 shown]
	s_wait_loadcnt 0xb
	v_add_f64_e64 v[194:195], v[126:127], -v[118:119]
	s_wait_loadcnt 0xa
	v_add_f64_e64 v[196:197], v[128:129], -v[120:121]
	;; [unrolled: 2-line block ×3, first 2 shown]
	v_add_f64_e64 v[216:217], v[114:115], -v[112:113]
	v_add_f64_e64 v[218:219], v[120:121], -v[118:119]
	;; [unrolled: 1-line block ×7, first 2 shown]
	v_mov_b64_e32 v[100:101], v[2:3]
	v_mov_b64_e32 v[106:107], 0
	;; [unrolled: 1-line block ×8, first 2 shown]
	s_wait_loadcnt 0x8
	v_add_f64_e64 v[200:201], v[132:133], -v[124:125]
	v_add_f64_e64 v[228:229], v[132:133], -v[126:127]
	;; [unrolled: 1-line block ×3, first 2 shown]
	s_wait_loadcnt 0x6
	v_add_f64_e64 v[234:235], v[136:137], -v[134:135]
	s_wait_loadcnt 0x5
	v_add_f64_e64 v[236:237], v[134:135], -v[138:139]
	;; [unrolled: 2-line block ×6, first 2 shown]
	v_add_f64_e64 v[246:247], v[144:145], -v[138:139]
	s_wait_loadcnt 0x0
	v_add_f64_e64 v[248:249], v[148:149], -v[144:145]
	v_add_f64_e64 v[250:251], v[136:137], -v[146:147]
	;; [unrolled: 1-line block ×4, first 2 shown]
	s_set_vgpr_msb 64                       ;  msbs: dst=1 src0=0 src1=0 src2=0
	v_add_f64_e64 v[0:1] /*v[256:257]*/, v[142:143], -v[136:137]
	s_set_vgpr_msb 0                        ;  msbs: dst=0 src0=0 src1=0 src2=0
	v_mov_b64_e32 v[116:117], v[2:3]
	v_mov_b64_e32 v[122:123], 0
	;; [unrolled: 1-line block ×15, first 2 shown]
.LBB1_2:                                ; =>This Loop Header: Depth=1
                                        ;     Child Loop BB1_3 Depth 2
                                        ;       Child Loop BB1_4 Depth 3
	s_set_vgpr_msb 64                       ;  msbs: dst=1 src0=0 src1=0 src2=0
	v_add_f64_e64 v[2:3] /*v[258:259]*/, -s[4:5], 1.0
	s_mov_b64 s[6:7], 0x3fcb0cb174df99c7
	s_xor_b32 s11, s8, -1
	s_mov_b32 s12, -1
	s_mov_b32 s8, 0
.LBB1_3:                                ;   Parent Loop BB1_2 Depth=1
                                        ; =>  This Loop Header: Depth=2
                                        ;       Child Loop BB1_4 Depth 3
	s_set_vgpr_msb 0                        ;  msbs: dst=0 src0=0 src1=0 src2=0
	scratch_load_b64 v[0:1], off, s10
	scratch_load_b64 v[148:149], off, s8
	s_set_vgpr_msb 0x45                     ;  msbs: dst=1 src0=1 src1=1 src2=0
	v_add_f64_e64 v[4:5] /*v[260:261]*/, -s[6:7], 1.0
	v_mul_f64_e64 v[16:17] /*v[272:273]*/, s[4:5], s[6:7]
	v_mul_f64_e32 v[18:19] /*v[274:275]*/, s[6:7], v[2:3] /*v[258:259]*/
	s_wait_xcnt 0x0
	s_mov_b64 s[8:9], 0x3fcb0cb174df99c7
	s_mov_b32 s13, -1
	s_xor_b32 s12, s12, -1
	s_mov_b32 s14, 0
	s_delay_alu instid0(VALU_DEP_3) | instskip(SKIP_2) | instid1(VALU_DEP_2)
	v_mul_f64_e32 v[6:7] /*v[262:263]*/, s[4:5], v[4:5] /*v[260:261]*/
	v_mul_f64_e32 v[8:9] /*v[264:265]*/, v[2:3] /*v[258:259]*/, v[4:5] /*v[260:261]*/
	s_set_vgpr_msb 0x44                     ;  msbs: dst=1 src0=0 src1=1 src2=0
	v_mul_f64_e32 v[10:11] /*v[266:267]*/, v[188:189], v[6:7] /*v[262:263]*/
	v_mul_f64_e32 v[12:13] /*v[268:269]*/, v[196:197], v[6:7] /*v[262:263]*/
	;; [unrolled: 1-line block ×3, first 2 shown]
	s_delay_alu instid0(VALU_DEP_3) | instskip(NEXT) | instid1(VALU_DEP_3)
	v_fmac_f64_e32 v[10:11] /*v[266:267]*/, v[186:187], v[8:9] /*v[264:265]*/
	v_fmac_f64_e32 v[12:13] /*v[268:269]*/, v[194:195], v[8:9] /*v[264:265]*/
	s_delay_alu instid0(VALU_DEP_3) | instskip(NEXT) | instid1(VALU_DEP_3)
	v_fmac_f64_e32 v[14:15] /*v[270:271]*/, v[244:245], v[8:9] /*v[264:265]*/
	v_fmac_f64_e32 v[10:11] /*v[266:267]*/, v[190:191], v[16:17] /*v[272:273]*/
	;; [unrolled: 3-line block ×4, first 2 shown]
	s_delay_alu instid0(VALU_DEP_3)
	v_fmac_f64_e32 v[14:15] /*v[270:271]*/, v[248:249], v[18:19] /*v[274:275]*/
	s_wait_loadcnt 0x0
	s_set_vgpr_msb 64                       ;  msbs: dst=1 src0=0 src1=0 src2=0
	v_mul_f64_e32 v[20:21] /*v[276:277]*/, v[0:1], v[148:149]
.LBB1_4:                                ;   Parent Loop BB1_2 Depth=1
                                        ;     Parent Loop BB1_3 Depth=2
                                        ; =>    This Inner Loop Header: Depth=3
	s_wait_xcnt 0x3
	s_set_vgpr_msb 4                        ;  msbs: dst=0 src0=0 src1=1 src2=0
	v_add_f64_e64 v[176:177], -s[8:9], 1.0
	s_wait_xcnt 0x2
	v_mul_f64_e32 v[160:161], s[8:9], v[4:5] /*v[260:261]*/
	v_mul_f64_e32 v[172:173], s[8:9], v[2:3] /*v[258:259]*/
	v_mul_f64_e64 v[164:165], s[6:7], s[8:9]
	v_mul_f64_e64 v[170:171], s[4:5], s[8:9]
	s_set_vgpr_msb 1                        ;  msbs: dst=0 src0=1 src1=0 src2=0
	v_mul_f64_e32 v[148:149], s[6:7], v[176:177]
	s_wait_xcnt 0x0
	v_mul_f64_e32 v[0:1], v[2:3] /*v[258:259]*/, v[176:177]
	v_mul_f64_e32 v[156:157], v[4:5] /*v[260:261]*/, v[176:177]
	v_mul_f64_e32 v[152:153], s[4:5], v[176:177]
	s_set_vgpr_msb 0                        ;  msbs: dst=0 src0=0 src1=0 src2=0
	s_delay_alu instid0(VALU_DEP_4) | instskip(SKIP_1) | instid1(VALU_DEP_4)
	v_mul_f64_e32 v[178:179], v[242:243], v[148:149]
	s_set_vgpr_msb 64                       ;  msbs: dst=1 src0=0 src1=0 src2=0
	v_mul_f64_e32 v[22:23] /*v[278:279]*/, v[220:221], v[0:1]
	s_set_vgpr_msb 0                        ;  msbs: dst=0 src0=0 src1=0 src2=0
	v_mul_f64_e32 v[182:183], v[222:223], v[148:149]
	v_mul_f64_e32 v[180:181], v[246:247], v[0:1]
	s_set_vgpr_msb 64                       ;  msbs: dst=1 src0=0 src1=0 src2=0
	v_mul_f64_e32 v[24:25] /*v[280:281]*/, v[204:205], v[0:1]
	v_mul_f64_e32 v[26:27] /*v[282:283]*/, v[206:207], v[148:149]
	s_set_vgpr_msb 0                        ;  msbs: dst=0 src0=0 src1=0 src2=0
	v_fmac_f64_e32 v[178:179], v[236:237], v[156:157]
	s_set_vgpr_msb 64                       ;  msbs: dst=1 src0=0 src1=0 src2=0
	v_fmac_f64_e32 v[22:23] /*v[278:279]*/, v[224:225], v[152:153]
	s_set_vgpr_msb 0                        ;  msbs: dst=0 src0=0 src1=0 src2=0
	v_fmac_f64_e32 v[182:183], v[218:219], v[156:157]
	v_fmac_f64_e32 v[180:181], v[238:239], v[152:153]
	s_set_vgpr_msb 64                       ;  msbs: dst=1 src0=0 src1=0 src2=0
	v_fmac_f64_e32 v[24:25] /*v[280:281]*/, v[208:209], v[152:153]
	v_fmac_f64_e32 v[26:27] /*v[282:283]*/, v[202:203], v[156:157]
	s_set_vgpr_msb 0                        ;  msbs: dst=0 src0=0 src1=0 src2=0
	v_fmac_f64_e32 v[178:179], v[250:251], v[160:161]
	s_set_vgpr_msb 64                       ;  msbs: dst=1 src0=0 src1=0 src2=0
	v_fmac_f64_e32 v[22:23] /*v[278:279]*/, v[228:229], v[172:173]
	s_set_vgpr_msb 0                        ;  msbs: dst=0 src0=0 src1=0 src2=0
	v_fmac_f64_e32 v[182:183], v[226:227], v[160:161]
	v_fmac_f64_e32 v[180:181], v[252:253], v[172:173]
	s_set_vgpr_msb 64                       ;  msbs: dst=1 src0=0 src1=0 src2=0
	v_fmac_f64_e32 v[24:25] /*v[280:281]*/, v[212:213], v[172:173]
	v_fmac_f64_e32 v[26:27] /*v[282:283]*/, v[210:211], v[160:161]
	s_set_vgpr_msb 0                        ;  msbs: dst=0 src0=0 src1=0 src2=0
	v_fmac_f64_e32 v[178:179], v[254:255], v[164:165]
	s_set_vgpr_msb 64                       ;  msbs: dst=1 src0=0 src1=0 src2=0
	v_fmac_f64_e32 v[22:23] /*v[278:279]*/, v[232:233], v[170:171]
	s_set_vgpr_msb 0                        ;  msbs: dst=0 src0=0 src1=0 src2=0
	v_fmac_f64_e32 v[182:183], v[230:231], v[164:165]
	s_set_vgpr_msb 1                        ;  msbs: dst=0 src0=1 src1=0 src2=0
	v_fmac_f64_e32 v[180:181], v[0:1] /*v[256:257]*/, v[170:171]
	s_set_vgpr_msb 64                       ;  msbs: dst=1 src0=0 src1=0 src2=0
	v_fmac_f64_e32 v[24:25] /*v[280:281]*/, v[216:217], v[170:171]
	v_fmac_f64_e32 v[26:27] /*v[282:283]*/, v[214:215], v[164:165]
	s_set_vgpr_msb 0x41                     ;  msbs: dst=1 src0=1 src1=0 src2=0
	v_mul_f64_e32 v[32:33] /*v[288:289]*/, v[22:23] /*v[278:279]*/, v[178:179]
	s_set_vgpr_msb 0x45                     ;  msbs: dst=1 src0=1 src1=1 src2=0
	v_mul_f64_e32 v[46:47] /*v[302:303]*/, v[10:11] /*v[266:267]*/, v[22:23] /*v[278:279]*/
	s_set_vgpr_msb 0                        ;  msbs: dst=0 src0=0 src1=0 src2=0
	v_mul_f64_e32 v[168:169], v[182:183], v[180:181]
	s_set_vgpr_msb 0x41                     ;  msbs: dst=1 src0=1 src1=0 src2=0
	s_delay_alu instid0(VALU_DEP_4)
	v_mul_f64_e32 v[34:35] /*v[290:291]*/, v[26:27] /*v[282:283]*/, v[180:181]
	s_set_vgpr_msb 0x45                     ;  msbs: dst=1 src0=1 src1=1 src2=0
	v_mul_f64_e32 v[28:29] /*v[284:285]*/, v[26:27] /*v[282:283]*/, v[22:23] /*v[278:279]*/
	v_mul_f64_e32 v[48:49] /*v[304:305]*/, v[12:13] /*v[268:269]*/, v[26:27] /*v[282:283]*/
	s_set_vgpr_msb 5                        ;  msbs: dst=0 src0=1 src1=1 src2=0
	v_mul_f64_e32 v[174:175], v[10:11] /*v[266:267]*/, v[32:33] /*v[288:289]*/
	s_set_vgpr_msb 0x50                     ;  msbs: dst=1 src0=0 src1=0 src2=1
	v_fma_f64 v[32:33] /*v[288:289]*/, v[182:183], v[180:181], -v[32:33] /*v[288:289]*/
	s_set_vgpr_msb 0x55                     ;  msbs: dst=1 src0=1 src1=1 src2=1
	v_fma_f64 v[46:47] /*v[302:303]*/, v[12:13] /*v[268:269]*/, v[24:25] /*v[280:281]*/, -v[46:47] /*v[302:303]*/
	s_set_vgpr_msb 0x51                     ;  msbs: dst=1 src0=1 src1=0 src2=1
	s_delay_alu instid0(VALU_DEP_4) | instskip(SKIP_1) | instid1(VALU_DEP_4)
	v_fma_f64 v[48:49] /*v[304:305]*/, v[10:11] /*v[266:267]*/, v[182:183], -v[48:49] /*v[304:305]*/
	s_set_vgpr_msb 1                        ;  msbs: dst=0 src0=1 src1=0 src2=0
	v_fma_f64 v[168:169], v[10:11] /*v[266:267]*/, v[168:169], -v[174:175]
	v_mul_f64_e32 v[174:175], v[24:25] /*v[280:281]*/, v[178:179]
	s_delay_alu instid0(VALU_DEP_1) | instskip(SKIP_2) | instid1(VALU_DEP_2)
	v_fmac_f64_e32 v[168:169], v[12:13] /*v[268:269]*/, v[174:175]
	v_mul_f64_e32 v[174:175], v[24:25] /*v[280:281]*/, v[182:183]
	s_set_vgpr_msb 5                        ;  msbs: dst=0 src0=1 src1=1 src2=0
	v_fma_f64 v[168:169], -v[12:13] /*v[268:269]*/, v[34:35] /*v[290:291]*/, v[168:169]
	s_set_vgpr_msb 0x51                     ;  msbs: dst=1 src0=1 src1=0 src2=1
	v_fma_f64 v[34:35] /*v[290:291]*/, v[24:25] /*v[280:281]*/, v[178:179], -v[34:35] /*v[290:291]*/
	s_set_vgpr_msb 1                        ;  msbs: dst=0 src0=1 src1=0 src2=0
	s_delay_alu instid0(VALU_DEP_2) | instskip(SKIP_2) | instid1(VALU_DEP_2)
	v_fma_f64 v[168:169], -v[14:15] /*v[270:271]*/, v[174:175], v[168:169]
	s_set_vgpr_msb 5                        ;  msbs: dst=0 src0=1 src1=1 src2=0
	v_fma_f64 v[174:175], v[26:27] /*v[282:283]*/, v[22:23] /*v[278:279]*/, -v[174:175]
	v_fmac_f64_e32 v[168:169], v[14:15] /*v[270:271]*/, v[28:29] /*v[284:285]*/
	s_set_vgpr_msb 64                       ;  msbs: dst=1 src0=0 src1=0 src2=0
	s_delay_alu instid0(VALU_DEP_1) | instskip(SKIP_1) | instid1(VALU_DEP_1)
	v_add_f64_e32 v[36:37] /*v[292:293]*/, 0x358dee7a4ad4b81f, v[168:169]
	s_set_vgpr_msb 0x55                     ;  msbs: dst=1 src0=1 src1=1 src2=1
	v_div_scale_f64 v[28:29] /*v[284:285]*/, null, v[36:37] /*v[292:293]*/, v[36:37] /*v[292:293]*/, 1.0
	s_delay_alu instid0(VALU_DEP_1) | instskip(SKIP_1) | instid1(TRANS32_DEP_1)
	v_rcp_f64_e32 v[30:31] /*v[286:287]*/, v[28:29] /*v[284:285]*/
	v_nop
	v_fma_f64 v[38:39] /*v[294:295]*/, -v[28:29] /*v[284:285]*/, v[30:31] /*v[286:287]*/, 1.0
	s_delay_alu instid0(VALU_DEP_1) | instskip(NEXT) | instid1(VALU_DEP_1)
	v_fmac_f64_e32 v[30:31] /*v[286:287]*/, v[30:31] /*v[286:287]*/, v[38:39] /*v[294:295]*/
	v_fma_f64 v[38:39] /*v[294:295]*/, -v[28:29] /*v[284:285]*/, v[30:31] /*v[286:287]*/, 1.0
	s_delay_alu instid0(VALU_DEP_1) | instskip(SKIP_1) | instid1(VALU_DEP_1)
	v_fmac_f64_e32 v[30:31] /*v[286:287]*/, v[30:31] /*v[286:287]*/, v[38:39] /*v[294:295]*/
	v_div_scale_f64 v[38:39] /*v[294:295]*/, vcc_lo, 1.0, v[36:37] /*v[292:293]*/, 1.0
	v_mul_f64_e32 v[40:41] /*v[296:297]*/, v[38:39] /*v[294:295]*/, v[30:31] /*v[286:287]*/
	s_delay_alu instid0(VALU_DEP_1) | instskip(NEXT) | instid1(VALU_DEP_1)
	v_fma_f64 v[28:29] /*v[284:285]*/, -v[28:29] /*v[284:285]*/, v[40:41] /*v[296:297]*/, v[38:39] /*v[294:295]*/
	v_div_fmas_f64 v[38:39] /*v[294:295]*/, v[28:29] /*v[284:285]*/, v[30:31] /*v[286:287]*/, v[40:41] /*v[296:297]*/
	s_set_vgpr_msb 64                       ;  msbs: dst=1 src0=0 src1=0 src2=0
	v_add_f64_e64 v[28:29] /*v[284:285]*/, |v[168:169]|, s[2:3]
	s_set_vgpr_msb 0x45                     ;  msbs: dst=1 src0=1 src1=1 src2=0
	s_delay_alu instid0(VALU_DEP_2) | instskip(NEXT) | instid1(VALU_DEP_2)
	v_div_fixup_f64 v[36:37] /*v[292:293]*/, v[38:39] /*v[294:295]*/, v[36:37] /*v[292:293]*/, 1.0
	v_div_scale_f64 v[30:31] /*v[286:287]*/, null, v[28:29] /*v[284:285]*/, v[28:29] /*v[284:285]*/, 1.0
	s_set_vgpr_msb 0x41                     ;  msbs: dst=1 src0=1 src1=0 src2=0
	v_mul_f64_e32 v[38:39] /*v[294:295]*/, v[12:13] /*v[268:269]*/, v[180:181]
	s_set_vgpr_msb 0x55                     ;  msbs: dst=1 src0=1 src1=1 src2=1
	v_mul_f64_e32 v[64:65] /*v[320:321]*/, v[32:33] /*v[288:289]*/, v[36:37] /*v[292:293]*/
	v_rcp_f64_e32 v[40:41] /*v[296:297]*/, v[30:31] /*v[286:287]*/
	v_mul_f64_e32 v[66:67] /*v[322:323]*/, v[34:35] /*v[290:291]*/, v[36:37] /*v[292:293]*/
	s_delay_alu instid0(VALU_DEP_3) | instskip(SKIP_4) | instid1(VALU_DEP_3)
	v_fma_f64 v[38:39] /*v[294:295]*/, v[14:15] /*v[270:271]*/, v[22:23] /*v[278:279]*/, -v[38:39] /*v[294:295]*/
	v_mul_f64_e32 v[46:47] /*v[302:303]*/, v[46:47] /*v[302:303]*/, v[36:37] /*v[292:293]*/
	v_mul_f64_e32 v[56:57] /*v[312:313]*/, v[48:49] /*v[304:305]*/, v[36:37] /*v[292:293]*/
	s_set_vgpr_msb 0x44                     ;  msbs: dst=1 src0=0 src1=1 src2=0
	v_mul_f64_e32 v[68:69] /*v[324:325]*/, v[174:175], v[36:37] /*v[292:293]*/
	v_mul_f64_e32 v[86:87] /*v[342:343]*/, 0, v[46:47] /*v[302:303]*/
	s_delay_alu instid0(VALU_DEP_3) | instskip(SKIP_1) | instid1(TRANS32_DEP_1)
	v_mul_f64_e32 v[76:77] /*v[332:333]*/, 0, v[56:57] /*v[312:313]*/
	s_set_vgpr_msb 0x45                     ;  msbs: dst=1 src0=1 src1=1 src2=0
	v_fma_f64 v[42:43] /*v[298:299]*/, -v[30:31] /*v[286:287]*/, v[40:41] /*v[296:297]*/, 1.0
	s_set_vgpr_msb 0x54                     ;  msbs: dst=1 src0=0 src1=1 src2=1
	s_delay_alu instid0(VALU_DEP_3) | instskip(NEXT) | instid1(VALU_DEP_3)
	v_fma_f64 v[92:93] /*v[348:349]*/, v[170:171], v[56:57] /*v[312:313]*/, v[86:87] /*v[342:343]*/
	v_fma_f64 v[80:81] /*v[336:337]*/, v[160:161], v[46:47] /*v[302:303]*/, v[76:77] /*v[332:333]*/
	s_set_vgpr_msb 0x55                     ;  msbs: dst=1 src0=1 src1=1 src2=1
	s_delay_alu instid0(VALU_DEP_3) | instskip(NEXT) | instid1(VALU_DEP_3)
	v_fmac_f64_e32 v[40:41] /*v[296:297]*/, v[40:41] /*v[296:297]*/, v[42:43] /*v[298:299]*/
	v_fmac_f64_e32 v[92:93] /*v[348:349]*/, 0, v[68:69] /*v[324:325]*/
	s_delay_alu instid0(VALU_DEP_3) | instskip(NEXT) | instid1(VALU_DEP_3)
	v_fmac_f64_e32 v[80:81] /*v[336:337]*/, 0, v[68:69] /*v[324:325]*/
	v_fma_f64 v[42:43] /*v[298:299]*/, -v[30:31] /*v[286:287]*/, v[40:41] /*v[296:297]*/, 1.0
	s_delay_alu instid0(VALU_DEP_1) | instskip(SKIP_1) | instid1(VALU_DEP_1)
	v_fmac_f64_e32 v[40:41] /*v[296:297]*/, v[40:41] /*v[296:297]*/, v[42:43] /*v[298:299]*/
	v_div_scale_f64 v[42:43] /*v[298:299]*/, vcc_lo, 1.0, v[28:29] /*v[284:285]*/, 1.0
	v_mul_f64_e32 v[44:45] /*v[300:301]*/, v[42:43] /*v[298:299]*/, v[40:41] /*v[296:297]*/
	s_delay_alu instid0(VALU_DEP_1) | instskip(SKIP_1) | instid1(VALU_DEP_2)
	v_fma_f64 v[30:31] /*v[286:287]*/, -v[30:31] /*v[286:287]*/, v[44:45] /*v[300:301]*/, v[42:43] /*v[298:299]*/
	v_mul_f64_e32 v[42:43] /*v[298:299]*/, v[14:15] /*v[270:271]*/, v[24:25] /*v[280:281]*/
	v_div_fmas_f64 v[30:31] /*v[286:287]*/, v[30:31] /*v[286:287]*/, v[40:41] /*v[296:297]*/, v[44:45] /*v[300:301]*/
	scratch_load_b64 v[40:41] /*v[296:297]*/, off, s14
	s_set_vgpr_msb 0x51                     ;  msbs: dst=1 src0=1 src1=0 src2=1
	v_mul_f64_e32 v[44:45] /*v[300:301]*/, v[10:11] /*v[266:267]*/, v[178:179]
	v_fma_f64 v[42:43] /*v[298:299]*/, v[10:11] /*v[266:267]*/, v[180:181], -v[42:43] /*v[298:299]*/
	s_wait_xcnt 0x0
	s_mov_b32 s14, 8
	s_set_vgpr_msb 0x55                     ;  msbs: dst=1 src0=1 src1=1 src2=1
	s_delay_alu instid0(VALU_DEP_2) | instskip(NEXT) | instid1(VALU_DEP_2)
	v_fma_f64 v[44:45] /*v[300:301]*/, v[14:15] /*v[270:271]*/, v[26:27] /*v[282:283]*/, -v[44:45] /*v[300:301]*/
	v_mul_f64_e32 v[50:51] /*v[306:307]*/, v[42:43] /*v[298:299]*/, v[36:37] /*v[292:293]*/
	s_delay_alu instid0(VALU_DEP_2) | instskip(SKIP_1) | instid1(VALU_DEP_3)
	v_mul_f64_e32 v[52:53] /*v[308:309]*/, v[44:45] /*v[300:301]*/, v[36:37] /*v[292:293]*/
	v_mul_f64_e32 v[44:45] /*v[300:301]*/, v[38:39] /*v[294:295]*/, v[36:37] /*v[292:293]*/
	v_mul_f64_e32 v[82:83] /*v[338:339]*/, 0, v[50:51] /*v[306:307]*/
	s_delay_alu instid0(VALU_DEP_3) | instskip(NEXT) | instid1(VALU_DEP_3)
	v_mul_f64_e32 v[70:71] /*v[326:327]*/, 0, v[52:53] /*v[308:309]*/
	v_mul_f64_e32 v[84:85] /*v[340:341]*/, 0, v[44:45] /*v[300:301]*/
	s_set_vgpr_msb 0x54                     ;  msbs: dst=1 src0=0 src1=1 src2=1
	s_delay_alu instid0(VALU_DEP_3) | instskip(NEXT) | instid1(VALU_DEP_3)
	v_fma_f64 v[88:89] /*v[344:345]*/, v[170:171], v[52:53] /*v[308:309]*/, v[82:83] /*v[338:339]*/
	v_fma_f64 v[32:33] /*v[288:289]*/, v[148:149], v[50:51] /*v[306:307]*/, v[70:71] /*v[326:327]*/
	v_fma_f64 v[72:73] /*v[328:329]*/, v[160:161], v[50:51] /*v[306:307]*/, v[70:71] /*v[326:327]*/
	s_delay_alu instid0(VALU_DEP_3) | instskip(NEXT) | instid1(VALU_DEP_3)
	v_fmac_f64_e32 v[88:89] /*v[344:345]*/, 0, v[66:67] /*v[322:323]*/
	v_fmac_f64_e32 v[32:33] /*v[288:289]*/, 0, v[66:67] /*v[322:323]*/
	s_delay_alu instid0(VALU_DEP_3) | instskip(SKIP_4) | instid1(VALU_DEP_1)
	v_fmac_f64_e32 v[72:73] /*v[328:329]*/, 0, v[66:67] /*v[322:323]*/
	s_wait_loadcnt 0x0
	s_set_vgpr_msb 0x45                     ;  msbs: dst=1 src0=1 src1=1 src2=0
	v_mul_f64_e32 v[40:41] /*v[296:297]*/, v[20:21] /*v[276:277]*/, v[40:41] /*v[296:297]*/
	s_set_vgpr_msb 1                        ;  msbs: dst=0 src0=1 src1=0 src2=0
	v_mul_f64_e64 v[168:169], v[40:41] /*v[296:297]*/, |v[168:169]|
	s_set_vgpr_msb 0x51                     ;  msbs: dst=1 src0=1 src1=0 src2=1
	v_mul_f64_e32 v[40:41] /*v[296:297]*/, v[14:15] /*v[270:271]*/, v[182:183]
	s_delay_alu instid0(VALU_DEP_1) | instskip(SKIP_1) | instid1(VALU_DEP_1)
	v_fma_f64 v[40:41] /*v[296:297]*/, v[12:13] /*v[268:269]*/, v[178:179], -v[40:41] /*v[296:297]*/
	s_set_vgpr_msb 0x45                     ;  msbs: dst=1 src0=1 src1=1 src2=0
	v_mul_f64_e32 v[54:55] /*v[310:311]*/, v[40:41] /*v[296:297]*/, v[36:37] /*v[292:293]*/
	s_set_vgpr_msb 0x54                     ;  msbs: dst=1 src0=0 src1=1 src2=1
	v_fma_f64 v[36:37] /*v[292:293]*/, v[156:157], v[50:51] /*v[306:307]*/, v[70:71] /*v[326:327]*/
	v_fmac_f64_e32 v[70:71] /*v[326:327]*/, v[164:165], v[50:51] /*v[306:307]*/
	s_delay_alu instid0(VALU_DEP_3) | instskip(NEXT) | instid1(VALU_DEP_3)
	v_mul_f64_e32 v[74:75] /*v[330:331]*/, 0, v[54:55] /*v[310:311]*/
	v_fmac_f64_e32 v[36:37] /*v[292:293]*/, 0, v[66:67] /*v[322:323]*/
	s_delay_alu instid0(VALU_DEP_3) | instskip(SKIP_1) | instid1(VALU_DEP_4)
	v_fmac_f64_e32 v[70:71] /*v[326:327]*/, 0, v[66:67] /*v[322:323]*/
	v_fma_f64 v[90:91] /*v[346:347]*/, v[170:171], v[54:55] /*v[310:311]*/, v[84:85] /*v[340:341]*/
	v_fma_f64 v[38:39] /*v[294:295]*/, v[156:157], v[44:45] /*v[300:301]*/, v[74:75] /*v[330:331]*/
	;; [unrolled: 1-line block ×4, first 2 shown]
	v_fmac_f64_e32 v[74:75] /*v[330:331]*/, v[164:165], v[44:45] /*v[300:301]*/
	s_set_vgpr_msb 20                       ;  msbs: dst=0 src0=0 src1=1 src2=1
	v_fma_f64 v[156:157], v[156:157], v[46:47] /*v[302:303]*/, v[76:77] /*v[332:333]*/
	v_fma_f64 v[148:149], v[148:149], v[46:47] /*v[302:303]*/, v[76:77] /*v[332:333]*/
	s_set_vgpr_msb 0x44                     ;  msbs: dst=1 src0=0 src1=1 src2=0
	v_fmac_f64_e32 v[76:77] /*v[332:333]*/, v[164:165], v[46:47] /*v[302:303]*/
	s_set_vgpr_msb 5                        ;  msbs: dst=0 src0=1 src1=1 src2=0
	v_mul_f64_e32 v[160:161], v[36:37] /*v[292:293]*/, v[70:71] /*v[326:327]*/
	s_set_vgpr_msb 0x44                     ;  msbs: dst=1 src0=0 src1=1 src2=0
	v_fmac_f64_e32 v[90:91] /*v[346:347]*/, 0, v[64:65] /*v[320:321]*/
	v_fmac_f64_e32 v[38:39] /*v[294:295]*/, 0, v[64:65] /*v[320:321]*/
	;; [unrolled: 1-line block ×5, first 2 shown]
	s_set_vgpr_msb 4                        ;  msbs: dst=0 src0=0 src1=1 src2=0
	v_fmac_f64_e32 v[156:157], 0, v[68:69] /*v[324:325]*/
	v_fmac_f64_e32 v[148:149], 0, v[68:69] /*v[324:325]*/
	s_set_vgpr_msb 0x44                     ;  msbs: dst=1 src0=0 src1=1 src2=0
	v_fmac_f64_e32 v[76:77] /*v[332:333]*/, 0, v[68:69] /*v[324:325]*/
	s_set_vgpr_msb 5                        ;  msbs: dst=0 src0=1 src1=1 src2=0
	s_delay_alu instid0(VALU_DEP_4) | instskip(SKIP_1) | instid1(VALU_DEP_1)
	v_fmac_f64_e32 v[160:161], v[38:39] /*v[294:295]*/, v[74:75] /*v[330:331]*/
	s_set_vgpr_msb 4                        ;  msbs: dst=0 src0=0 src1=1 src2=0
	v_fmac_f64_e32 v[160:161], v[156:157], v[76:77] /*v[332:333]*/
	s_set_vgpr_msb 0                        ;  msbs: dst=0 src0=0 src1=0 src2=0
	s_delay_alu instid0(VALU_DEP_1) | instskip(SKIP_3) | instid1(VALU_DEP_2)
	v_fmac_f64_e32 v[142:143], v[168:169], v[160:161]
	s_set_vgpr_msb 5                        ;  msbs: dst=0 src0=1 src1=1 src2=0
	v_mul_f64_e32 v[160:161], v[32:33] /*v[288:289]*/, v[70:71] /*v[326:327]*/
	s_set_vgpr_msb 64                       ;  msbs: dst=1 src0=0 src1=0 src2=0
	v_mov_b32_e32 v40 /*v296*/, v142
	s_set_vgpr_msb 5                        ;  msbs: dst=0 src0=1 src1=1 src2=0
	s_delay_alu instid0(VALU_DEP_2) | instskip(SKIP_1) | instid1(VALU_DEP_4)
	v_fmac_f64_e32 v[160:161], v[34:35] /*v[290:291]*/, v[74:75] /*v[330:331]*/
	s_set_vgpr_msb 64                       ;  msbs: dst=1 src0=0 src1=0 src2=0
	v_mov_b32_e32 v41 /*v297*/, v143
	s_set_vgpr_msb 4                        ;  msbs: dst=0 src0=0 src1=1 src2=0
	s_delay_alu instid0(VALU_DEP_2) | instskip(SKIP_1) | instid1(VALU_DEP_1)
	v_fmac_f64_e32 v[160:161], v[148:149], v[76:77] /*v[332:333]*/
	s_set_vgpr_msb 0                        ;  msbs: dst=0 src0=0 src1=0 src2=0
	v_fmac_f64_e32 v[122:123], v[168:169], v[160:161]
	s_set_vgpr_msb 5                        ;  msbs: dst=0 src0=1 src1=1 src2=0
	v_mul_f64_e32 v[160:161], v[72:73] /*v[328:329]*/, v[70:71] /*v[326:327]*/
	s_set_vgpr_msb 64                       ;  msbs: dst=1 src0=0 src1=0 src2=0
	s_delay_alu instid0(VALU_DEP_2) | instskip(SKIP_1) | instid1(VALU_DEP_2)
	v_mov_b32_e32 v42 /*v298*/, v122
	s_set_vgpr_msb 5                        ;  msbs: dst=0 src0=1 src1=1 src2=0
	v_fmac_f64_e32 v[160:161], v[78:79] /*v[334:335]*/, v[74:75] /*v[330:331]*/
	s_set_vgpr_msb 64                       ;  msbs: dst=1 src0=0 src1=0 src2=0
	s_delay_alu instid0(VALU_DEP_4) | instskip(SKIP_4) | instid1(VALU_DEP_1)
	v_mov_b32_e32 v43 /*v299*/, v123
	s_set_vgpr_msb 5                        ;  msbs: dst=0 src0=1 src1=1 src2=0
	scratch_store_b128 off, v[40:43] /*v[296:299]*/, off offset:304
	v_fmac_f64_e32 v[160:161], v[80:81] /*v[336:337]*/, v[76:77] /*v[332:333]*/
	s_set_vgpr_msb 0                        ;  msbs: dst=0 src0=0 src1=0 src2=0
	v_fmac_f64_e32 v[102:103], v[168:169], v[160:161]
	s_set_vgpr_msb 5                        ;  msbs: dst=0 src0=1 src1=1 src2=0
	v_mul_f64_e32 v[160:161], v[70:71] /*v[326:327]*/, v[70:71] /*v[326:327]*/
	s_delay_alu instid0(VALU_DEP_1) | instskip(NEXT) | instid1(VALU_DEP_1)
	v_fmac_f64_e32 v[160:161], v[74:75] /*v[330:331]*/, v[74:75] /*v[330:331]*/
	v_fmac_f64_e32 v[160:161], v[76:77] /*v[332:333]*/, v[76:77] /*v[332:333]*/
	s_set_vgpr_msb 0                        ;  msbs: dst=0 src0=0 src1=0 src2=0
	s_delay_alu instid0(VALU_DEP_1)
	v_fmac_f64_e32 v[162:163], v[168:169], v[160:161]
	v_mov_b32_e32 v161, v103
	s_wait_xcnt 0x0
	s_set_vgpr_msb 0x54                     ;  msbs: dst=1 src0=0 src1=1 src2=1
	v_fma_f64 v[42:43] /*v[298:299]*/, v[152:153], v[52:53] /*v[308:309]*/, v[82:83] /*v[338:339]*/
	v_fma_f64 v[40:41] /*v[296:297]*/, v[152:153], v[54:55] /*v[310:311]*/, v[84:85] /*v[340:341]*/
	s_set_vgpr_msb 20                       ;  msbs: dst=0 src0=0 src1=1 src2=1
	v_dual_fma_f64 v[164:165], v[152:153], v[56:57] /*v[312:313]*/, v[86:87] /*v[342:343]*/ :: v_dual_mov_b32 v160, v102
	s_set_vgpr_msb 0x44                     ;  msbs: dst=1 src0=0 src1=1 src2=0
	s_delay_alu instid0(VALU_DEP_3) | instskip(NEXT) | instid1(VALU_DEP_3)
	v_fmac_f64_e32 v[42:43] /*v[298:299]*/, 0, v[66:67] /*v[322:323]*/
	v_fmac_f64_e32 v[40:41] /*v[296:297]*/, 0, v[64:65] /*v[320:321]*/
	s_set_vgpr_msb 5                        ;  msbs: dst=0 src0=1 src1=1 src2=0
	s_delay_alu instid0(VALU_DEP_3) | instskip(NEXT) | instid1(VALU_DEP_3)
	v_fmac_f64_e32 v[164:165], 0, v[68:69] /*v[324:325]*/
	v_mul_f64_e32 v[152:153], v[36:37] /*v[292:293]*/, v[42:43] /*v[298:299]*/
	s_delay_alu instid0(VALU_DEP_1) | instskip(SKIP_1) | instid1(VALU_DEP_1)
	v_fmac_f64_e32 v[152:153], v[38:39] /*v[294:295]*/, v[40:41] /*v[296:297]*/
	s_set_vgpr_msb 0                        ;  msbs: dst=0 src0=0 src1=0 src2=0
	v_fmac_f64_e32 v[152:153], v[156:157], v[164:165]
	s_delay_alu instid0(VALU_DEP_1) | instskip(SKIP_3) | instid1(VALU_DEP_2)
	v_fmac_f64_e32 v[138:139], v[168:169], v[152:153]
	s_set_vgpr_msb 5                        ;  msbs: dst=0 src0=1 src1=1 src2=0
	v_mul_f64_e32 v[152:153], v[32:33] /*v[288:289]*/, v[42:43] /*v[298:299]*/
	s_set_vgpr_msb 64                       ;  msbs: dst=1 src0=0 src1=0 src2=0
	v_mov_b32_e32 v44 /*v300*/, v138
	s_set_vgpr_msb 5                        ;  msbs: dst=0 src0=1 src1=1 src2=0
	s_delay_alu instid0(VALU_DEP_2) | instskip(SKIP_1) | instid1(VALU_DEP_4)
	v_fmac_f64_e32 v[152:153], v[34:35] /*v[290:291]*/, v[40:41] /*v[296:297]*/
	s_set_vgpr_msb 64                       ;  msbs: dst=1 src0=0 src1=0 src2=0
	v_mov_b32_e32 v45 /*v301*/, v139
	s_set_vgpr_msb 0                        ;  msbs: dst=0 src0=0 src1=0 src2=0
	s_delay_alu instid0(VALU_DEP_2) | instskip(NEXT) | instid1(VALU_DEP_1)
	v_fmac_f64_e32 v[152:153], v[148:149], v[164:165]
	v_fmac_f64_e32 v[118:119], v[168:169], v[152:153]
	s_set_vgpr_msb 5                        ;  msbs: dst=0 src0=1 src1=1 src2=0
	v_mul_f64_e32 v[152:153], v[72:73] /*v[328:329]*/, v[42:43] /*v[298:299]*/
	s_set_vgpr_msb 64                       ;  msbs: dst=1 src0=0 src1=0 src2=0
	s_delay_alu instid0(VALU_DEP_2) | instskip(SKIP_1) | instid1(VALU_DEP_2)
	v_mov_b32_e32 v46 /*v302*/, v118
	s_set_vgpr_msb 5                        ;  msbs: dst=0 src0=1 src1=1 src2=0
	v_fmac_f64_e32 v[152:153], v[78:79] /*v[334:335]*/, v[40:41] /*v[296:297]*/
	s_set_vgpr_msb 64                       ;  msbs: dst=1 src0=0 src1=0 src2=0
	s_delay_alu instid0(VALU_DEP_4) | instskip(SKIP_1) | instid1(VALU_DEP_2)
	v_mov_b32_e32 v47 /*v303*/, v119
	s_set_vgpr_msb 1                        ;  msbs: dst=0 src0=1 src1=0 src2=0
	v_fmac_f64_e32 v[152:153], v[80:81] /*v[336:337]*/, v[164:165]
	s_set_vgpr_msb 0                        ;  msbs: dst=0 src0=0 src1=0 src2=0
	s_delay_alu instid0(VALU_DEP_1) | instskip(SKIP_3) | instid1(VALU_DEP_2)
	v_fmac_f64_e32 v[98:99], v[168:169], v[152:153]
	s_set_vgpr_msb 5                        ;  msbs: dst=0 src0=1 src1=1 src2=0
	v_mul_f64_e32 v[152:153], v[70:71] /*v[326:327]*/, v[42:43] /*v[298:299]*/
	s_set_vgpr_msb 64                       ;  msbs: dst=1 src0=0 src1=0 src2=0
	v_mov_b32_e32 v48 /*v304*/, v98
	s_set_vgpr_msb 5                        ;  msbs: dst=0 src0=1 src1=1 src2=0
	s_delay_alu instid0(VALU_DEP_2) | instskip(SKIP_1) | instid1(VALU_DEP_4)
	v_fmac_f64_e32 v[152:153], v[74:75] /*v[330:331]*/, v[40:41] /*v[296:297]*/
	s_set_vgpr_msb 64                       ;  msbs: dst=1 src0=0 src1=0 src2=0
	v_mov_b32_e32 v49 /*v305*/, v99
	s_set_vgpr_msb 1                        ;  msbs: dst=0 src0=1 src1=0 src2=0
	s_delay_alu instid0(VALU_DEP_2) | instskip(SKIP_1) | instid1(VALU_DEP_1)
	v_fmac_f64_e32 v[152:153], v[76:77] /*v[332:333]*/, v[164:165]
	s_set_vgpr_msb 0                        ;  msbs: dst=0 src0=0 src1=0 src2=0
	v_fmac_f64_e32 v[82:83], v[168:169], v[152:153]
	s_set_vgpr_msb 5                        ;  msbs: dst=0 src0=1 src1=1 src2=0
	v_mul_f64_e32 v[152:153], v[36:37] /*v[292:293]*/, v[88:89] /*v[344:345]*/
	s_set_vgpr_msb 64                       ;  msbs: dst=1 src0=0 src1=0 src2=0
	s_delay_alu instid0(VALU_DEP_2) | instskip(SKIP_1) | instid1(VALU_DEP_2)
	v_mov_b32_e32 v50 /*v306*/, v82
	s_set_vgpr_msb 5                        ;  msbs: dst=0 src0=1 src1=1 src2=0
	v_fmac_f64_e32 v[152:153], v[38:39] /*v[294:295]*/, v[90:91] /*v[346:347]*/
	s_set_vgpr_msb 64                       ;  msbs: dst=1 src0=0 src1=0 src2=0
	s_delay_alu instid0(VALU_DEP_4)
	v_mov_b32_e32 v51 /*v307*/, v83
	s_set_vgpr_msb 4                        ;  msbs: dst=0 src0=0 src1=1 src2=0
	s_clause 0x1
	scratch_store_b128 off, v[44:47] /*v[300:303]*/, off offset:496
	scratch_store_b128 off, v[48:51] /*v[304:307]*/, off offset:512
	v_fmac_f64_e32 v[152:153], v[156:157], v[92:93] /*v[348:349]*/
	s_set_vgpr_msb 0                        ;  msbs: dst=0 src0=0 src1=0 src2=0
	s_delay_alu instid0(VALU_DEP_1) | instskip(SKIP_4) | instid1(VALU_DEP_2)
	v_fmac_f64_e32 v[134:135], v[168:169], v[152:153]
	s_set_vgpr_msb 5                        ;  msbs: dst=0 src0=1 src1=1 src2=0
	v_mul_f64_e32 v[152:153], v[32:33] /*v[288:289]*/, v[88:89] /*v[344:345]*/
	s_wait_xcnt 0x1
	s_set_vgpr_msb 64                       ;  msbs: dst=1 src0=0 src1=0 src2=0
	v_mov_b32_e32 v44 /*v300*/, v134
	s_set_vgpr_msb 5                        ;  msbs: dst=0 src0=1 src1=1 src2=0
	s_delay_alu instid0(VALU_DEP_2) | instskip(SKIP_1) | instid1(VALU_DEP_4)
	v_fmac_f64_e32 v[152:153], v[34:35] /*v[290:291]*/, v[90:91] /*v[346:347]*/
	s_set_vgpr_msb 0x54                     ;  msbs: dst=1 src0=0 src1=1 src2=1
	v_dual_fma_f64 v[94:95] /*v[350:351]*/, v[172:173], v[52:53] /*v[308:309]*/, v[82:83] /*v[338:339]*/ :: v_dual_mov_b32 v45 /*v301*/, v135
	v_fma_f64 v[96:97] /*v[352:353]*/, v[172:173], v[54:55] /*v[310:311]*/, v[84:85] /*v[340:341]*/
	s_set_vgpr_msb 4                        ;  msbs: dst=0 src0=0 src1=1 src2=0
	s_delay_alu instid0(VALU_DEP_3) | instskip(SKIP_1) | instid1(VALU_DEP_1)
	v_fmac_f64_e32 v[152:153], v[148:149], v[92:93] /*v[348:349]*/
	s_set_vgpr_msb 0                        ;  msbs: dst=0 src0=0 src1=0 src2=0
	v_fmac_f64_e32 v[114:115], v[168:169], v[152:153]
	s_set_vgpr_msb 5                        ;  msbs: dst=0 src0=1 src1=1 src2=0
	v_mul_f64_e32 v[152:153], v[72:73] /*v[328:329]*/, v[88:89] /*v[344:345]*/
	s_set_vgpr_msb 64                       ;  msbs: dst=1 src0=0 src1=0 src2=0
	s_delay_alu instid0(VALU_DEP_2) | instskip(SKIP_1) | instid1(VALU_DEP_2)
	v_mov_b32_e32 v46 /*v302*/, v114
	s_set_vgpr_msb 5                        ;  msbs: dst=0 src0=1 src1=1 src2=0
	v_fmac_f64_e32 v[152:153], v[78:79] /*v[334:335]*/, v[90:91] /*v[346:347]*/
	s_set_vgpr_msb 64                       ;  msbs: dst=1 src0=0 src1=0 src2=0
	s_delay_alu instid0(VALU_DEP_4)
	v_mov_b32_e32 v47 /*v303*/, v115
	s_set_vgpr_msb 20                       ;  msbs: dst=0 src0=0 src1=1 src2=1
	v_fma_f64 v[170:171], v[0:1], v[56:57] /*v[312:313]*/, v[86:87] /*v[342:343]*/
	s_set_vgpr_msb 0x54                     ;  msbs: dst=1 src0=0 src1=1 src2=1
	v_fma_f64 v[98:99] /*v[354:355]*/, v[172:173], v[56:57] /*v[312:313]*/, v[86:87] /*v[342:343]*/
	v_fmac_f64_e32 v[86:87] /*v[342:343]*/, 0, v[56:57] /*v[312:313]*/
	s_set_vgpr_msb 21                       ;  msbs: dst=0 src0=1 src1=1 src2=1
	v_fmac_f64_e32 v[152:153], v[80:81] /*v[336:337]*/, v[92:93] /*v[348:349]*/
	s_delay_alu instid0(VALU_DEP_4) | instskip(NEXT) | instid1(VALU_DEP_3)
	v_fmac_f64_e32 v[170:171], 0, v[68:69] /*v[324:325]*/
	v_fma_f64 v[172:173], v[6:7] /*v[262:263]*/, v[68:69] /*v[324:325]*/, v[86:87] /*v[342:343]*/
	v_fma_f64 v[174:175], v[8:9] /*v[264:265]*/, v[68:69] /*v[324:325]*/, v[86:87] /*v[342:343]*/
	s_set_vgpr_msb 0x55                     ;  msbs: dst=1 src0=1 src1=1 src2=1
	v_fma_f64 v[104:105] /*v[360:361]*/, v[18:19] /*v[274:275]*/, v[68:69] /*v[324:325]*/, v[86:87] /*v[342:343]*/
	v_fmac_f64_e32 v[86:87] /*v[342:343]*/, v[16:17] /*v[272:273]*/, v[68:69] /*v[324:325]*/
	s_set_vgpr_msb 0                        ;  msbs: dst=0 src0=0 src1=0 src2=0
	v_fmac_f64_e32 v[94:95], v[168:169], v[152:153]
	s_set_vgpr_msb 5                        ;  msbs: dst=0 src0=1 src1=1 src2=0
	v_mul_f64_e32 v[152:153], v[70:71] /*v[326:327]*/, v[88:89] /*v[344:345]*/
	s_wait_xcnt 0x0
	s_set_vgpr_msb 64                       ;  msbs: dst=1 src0=0 src1=0 src2=0
	s_delay_alu instid0(VALU_DEP_2) | instskip(SKIP_1) | instid1(VALU_DEP_2)
	v_mov_b32_e32 v48 /*v304*/, v94
	s_set_vgpr_msb 5                        ;  msbs: dst=0 src0=1 src1=1 src2=0
	v_fmac_f64_e32 v[152:153], v[74:75] /*v[330:331]*/, v[90:91] /*v[346:347]*/
	s_delay_alu instid0(VALU_DEP_1) | instskip(SKIP_1) | instid1(VALU_DEP_1)
	v_fmac_f64_e32 v[152:153], v[76:77] /*v[332:333]*/, v[92:93] /*v[348:349]*/
	s_set_vgpr_msb 0                        ;  msbs: dst=0 src0=0 src1=0 src2=0
	v_fmac_f64_e32 v[78:79], v[168:169], v[152:153]
	s_set_vgpr_msb 64                       ;  msbs: dst=1 src0=0 src1=0 src2=0
	s_delay_alu instid0(VALU_DEP_1) | instskip(NEXT) | instid1(VALU_DEP_2)
	v_dual_mov_b32 v49 /*v305*/, v95 :: v_dual_mov_b32 v50 /*v306*/, v78
	v_mov_b32_e32 v51 /*v307*/, v79
	s_set_vgpr_msb 0x54                     ;  msbs: dst=1 src0=0 src1=1 src2=1
	s_clause 0x1
	scratch_store_b128 off, v[44:47] /*v[300:303]*/, off offset:688
	scratch_store_b128 off, v[48:51] /*v[304:307]*/, off offset:704
	s_wait_xcnt 0x0
	v_fma_f64 v[48:49] /*v[304:305]*/, v[0:1], v[52:53] /*v[308:309]*/, v[82:83] /*v[338:339]*/
	v_fmac_f64_e32 v[82:83] /*v[338:339]*/, 0, v[52:53] /*v[308:309]*/
	v_fma_f64 v[50:51] /*v[306:307]*/, v[0:1], v[54:55] /*v[310:311]*/, v[84:85] /*v[340:341]*/
	v_fmac_f64_e32 v[84:85] /*v[340:341]*/, 0, v[54:55] /*v[310:311]*/
	s_delay_alu instid0(VALU_DEP_4) | instskip(SKIP_1) | instid1(VALU_DEP_4)
	v_fmac_f64_e32 v[48:49] /*v[304:305]*/, 0, v[66:67] /*v[322:323]*/
	s_set_vgpr_msb 0x55                     ;  msbs: dst=1 src0=1 src1=1 src2=1
	v_fma_f64 v[46:47] /*v[302:303]*/, v[6:7] /*v[262:263]*/, v[66:67] /*v[322:323]*/, v[82:83] /*v[338:339]*/
	v_fma_f64 v[100:101] /*v[356:357]*/, v[18:19] /*v[274:275]*/, v[66:67] /*v[322:323]*/, v[82:83] /*v[338:339]*/
	s_delay_alu instid0(VALU_DEP_4) | instskip(SKIP_2) | instid1(VALU_DEP_4)
	v_fma_f64 v[44:45] /*v[300:301]*/, v[6:7] /*v[262:263]*/, v[64:65] /*v[320:321]*/, v[84:85] /*v[340:341]*/
	v_fma_f64 v[102:103] /*v[358:359]*/, v[18:19] /*v[274:275]*/, v[64:65] /*v[320:321]*/, v[84:85] /*v[340:341]*/
	s_set_vgpr_msb 5                        ;  msbs: dst=0 src0=1 src1=1 src2=0
	v_mul_f64_e32 v[0:1], v[36:37] /*v[292:293]*/, v[46:47] /*v[302:303]*/
	s_delay_alu instid0(VALU_DEP_1) | instskip(SKIP_1) | instid1(VALU_DEP_1)
	v_fmac_f64_e32 v[0:1], v[38:39] /*v[294:295]*/, v[44:45] /*v[300:301]*/
	s_set_vgpr_msb 0                        ;  msbs: dst=0 src0=0 src1=0 src2=0
	v_fmac_f64_e32 v[0:1], v[156:157], v[172:173]
	s_delay_alu instid0(VALU_DEP_1) | instskip(SKIP_3) | instid1(VALU_DEP_2)
	v_fmac_f64_e32 v[130:131], v[168:169], v[0:1]
	s_set_vgpr_msb 5                        ;  msbs: dst=0 src0=1 src1=1 src2=0
	v_mul_f64_e32 v[0:1], v[32:33] /*v[288:289]*/, v[46:47] /*v[302:303]*/
	s_set_vgpr_msb 64                       ;  msbs: dst=1 src0=0 src1=0 src2=0
	v_mov_b32_e32 v52 /*v308*/, v130
	s_set_vgpr_msb 5                        ;  msbs: dst=0 src0=1 src1=1 src2=0
	s_delay_alu instid0(VALU_DEP_2) | instskip(SKIP_1) | instid1(VALU_DEP_4)
	v_fmac_f64_e32 v[0:1], v[34:35] /*v[290:291]*/, v[44:45] /*v[300:301]*/
	s_set_vgpr_msb 0x44                     ;  msbs: dst=1 src0=0 src1=1 src2=0
	v_mov_b32_e32 v53 /*v309*/, v131
	v_fmac_f64_e32 v[50:51] /*v[306:307]*/, 0, v[64:65] /*v[320:321]*/
	v_fmac_f64_e32 v[94:95] /*v[350:351]*/, 0, v[66:67] /*v[322:323]*/
	s_set_vgpr_msb 0                        ;  msbs: dst=0 src0=0 src1=0 src2=0
	s_delay_alu instid0(VALU_DEP_4) | instskip(NEXT) | instid1(VALU_DEP_1)
	v_fmac_f64_e32 v[0:1], v[148:149], v[172:173]
	v_fmac_f64_e32 v[110:111], v[168:169], v[0:1]
	s_set_vgpr_msb 5                        ;  msbs: dst=0 src0=1 src1=1 src2=0
	v_mul_f64_e32 v[0:1], v[72:73] /*v[328:329]*/, v[46:47] /*v[302:303]*/
	s_set_vgpr_msb 64                       ;  msbs: dst=1 src0=0 src1=0 src2=0
	s_delay_alu instid0(VALU_DEP_2) | instskip(SKIP_1) | instid1(VALU_DEP_2)
	v_mov_b32_e32 v54 /*v310*/, v110
	s_set_vgpr_msb 5                        ;  msbs: dst=0 src0=1 src1=1 src2=0
	v_fmac_f64_e32 v[0:1], v[78:79] /*v[334:335]*/, v[44:45] /*v[300:301]*/
	s_set_vgpr_msb 0x44                     ;  msbs: dst=1 src0=0 src1=1 src2=0
	s_delay_alu instid0(VALU_DEP_4) | instskip(SKIP_3) | instid1(VALU_DEP_4)
	v_mov_b32_e32 v55 /*v311*/, v111
	v_fmac_f64_e32 v[96:97] /*v[352:353]*/, 0, v[64:65] /*v[320:321]*/
	v_fmac_f64_e32 v[98:99] /*v[354:355]*/, 0, v[68:69] /*v[324:325]*/
	s_set_vgpr_msb 1                        ;  msbs: dst=0 src0=1 src1=0 src2=0
	v_fmac_f64_e32 v[0:1], v[80:81] /*v[336:337]*/, v[172:173]
	s_set_vgpr_msb 0                        ;  msbs: dst=0 src0=0 src1=0 src2=0
	s_delay_alu instid0(VALU_DEP_1) | instskip(SKIP_3) | instid1(VALU_DEP_2)
	v_fmac_f64_e32 v[90:91], v[168:169], v[0:1]
	s_set_vgpr_msb 5                        ;  msbs: dst=0 src0=1 src1=1 src2=0
	v_mul_f64_e32 v[0:1], v[70:71] /*v[326:327]*/, v[46:47] /*v[302:303]*/
	s_set_vgpr_msb 64                       ;  msbs: dst=1 src0=0 src1=0 src2=0
	v_dual_mov_b32 v56 /*v312*/, v90 :: v_dual_mov_b32 v57 /*v313*/, v91
	s_set_vgpr_msb 5                        ;  msbs: dst=0 src0=1 src1=1 src2=0
	s_delay_alu instid0(VALU_DEP_2) | instskip(SKIP_1) | instid1(VALU_DEP_1)
	v_fmac_f64_e32 v[0:1], v[74:75] /*v[330:331]*/, v[44:45] /*v[300:301]*/
	s_set_vgpr_msb 1                        ;  msbs: dst=0 src0=1 src1=0 src2=0
	v_fmac_f64_e32 v[0:1], v[76:77] /*v[332:333]*/, v[172:173]
	s_set_vgpr_msb 0                        ;  msbs: dst=0 src0=0 src1=0 src2=0
	s_delay_alu instid0(VALU_DEP_1) | instskip(SKIP_1) | instid1(VALU_DEP_1)
	v_fmac_f64_e32 v[74:75], v[168:169], v[0:1]
	s_set_vgpr_msb 64                       ;  msbs: dst=1 src0=0 src1=0 src2=0
	v_dual_mov_b32 v58 /*v314*/, v74 :: v_dual_mov_b32 v59 /*v315*/, v75
	s_set_vgpr_msb 0x55                     ;  msbs: dst=1 src0=1 src1=1 src2=1
	s_clause 0x1
	scratch_store_b128 off, v[52:55] /*v[308:311]*/, off offset:880
	scratch_store_b128 off, v[56:59] /*v[312:315]*/, off offset:896
	s_wait_xcnt 0x1
	v_fma_f64 v[52:53] /*v[308:309]*/, v[8:9] /*v[264:265]*/, v[66:67] /*v[322:323]*/, v[82:83] /*v[338:339]*/
	v_fmac_f64_e32 v[82:83] /*v[338:339]*/, v[16:17] /*v[272:273]*/, v[66:67] /*v[322:323]*/
	v_fma_f64 v[54:55] /*v[310:311]*/, v[8:9] /*v[264:265]*/, v[64:65] /*v[320:321]*/, v[84:85] /*v[340:341]*/
	v_fmac_f64_e32 v[84:85] /*v[340:341]*/, v[16:17] /*v[272:273]*/, v[64:65] /*v[320:321]*/
	v_div_fixup_f64 v[66:67] /*v[322:323]*/, v[30:31] /*v[286:287]*/, v[28:29] /*v[284:285]*/, 1.0
	s_set_vgpr_msb 5                        ;  msbs: dst=0 src0=1 src1=1 src2=0
	s_delay_alu instid0(VALU_DEP_4) | instskip(SKIP_1) | instid1(VALU_DEP_2)
	v_mul_f64_e32 v[0:1], v[36:37] /*v[292:293]*/, v[82:83] /*v[338:339]*/
	s_set_vgpr_msb 0x45                     ;  msbs: dst=1 src0=1 src1=1 src2=0
	v_mul_f64_e32 v[26:27] /*v[282:283]*/, v[26:27] /*v[282:283]*/, v[66:67] /*v[322:323]*/
	v_mul_f64_e32 v[24:25] /*v[280:281]*/, v[24:25] /*v[280:281]*/, v[66:67] /*v[322:323]*/
	s_set_vgpr_msb 4                        ;  msbs: dst=0 src0=0 src1=1 src2=0
	v_mul_f64_e32 v[182:183], v[182:183], v[66:67] /*v[322:323]*/
	s_set_vgpr_msb 0x45                     ;  msbs: dst=1 src0=1 src1=1 src2=0
	v_mul_f64_e32 v[22:23] /*v[278:279]*/, v[22:23] /*v[278:279]*/, v[66:67] /*v[322:323]*/
	v_mul_f64_e32 v[118:119] /*v[374:375]*/, v[14:15] /*v[270:271]*/, v[66:67] /*v[322:323]*/
	s_set_vgpr_msb 5                        ;  msbs: dst=0 src0=1 src1=1 src2=0
	v_fmac_f64_e32 v[0:1], v[38:39] /*v[294:295]*/, v[84:85] /*v[340:341]*/
	s_set_vgpr_msb 0x45                     ;  msbs: dst=1 src0=1 src1=1 src2=0
	v_mul_f64_e32 v[28:29] /*v[284:285]*/, 0, v[24:25] /*v[280:281]*/
	v_mul_f64_e32 v[30:31] /*v[286:287]*/, v[4:5] /*v[260:261]*/, v[24:25] /*v[280:281]*/
	v_mul_f64_e32 v[64:65] /*v[320:321]*/, s[6:7], v[22:23] /*v[278:279]*/
	s_set_vgpr_msb 4                        ;  msbs: dst=0 src0=0 src1=1 src2=0
	s_delay_alu instid0(VALU_DEP_4) | instskip(SKIP_1) | instid1(VALU_DEP_3)
	v_fmac_f64_e32 v[0:1], v[156:157], v[86:87] /*v[342:343]*/
	s_set_vgpr_msb 0x55                     ;  msbs: dst=1 src0=1 src1=1 src2=1
	v_fma_f64 v[68:69] /*v[324:325]*/, v[26:27] /*v[282:283]*/, -v[2:3] /*v[258:259]*/, v[30:31] /*v[286:287]*/
	s_set_vgpr_msb 0x41                     ;  msbs: dst=1 src0=1 src1=0 src2=0
	s_delay_alu instid0(VALU_DEP_3) | instskip(SKIP_1) | instid1(VALU_DEP_3)
	v_fmac_f64_e32 v[64:65] /*v[320:321]*/, v[2:3] /*v[258:259]*/, v[182:183]
	s_set_vgpr_msb 0                        ;  msbs: dst=0 src0=0 src1=0 src2=0
	v_fmac_f64_e32 v[126:127], v[168:169], v[0:1]
	s_set_vgpr_msb 5                        ;  msbs: dst=0 src0=1 src1=1 src2=0
	v_mul_f64_e32 v[0:1], v[32:33] /*v[288:289]*/, v[82:83] /*v[338:339]*/
	s_wait_xcnt 0x0
	s_set_vgpr_msb 64                       ;  msbs: dst=1 src0=0 src1=0 src2=0
	s_delay_alu instid0(VALU_DEP_2) | instskip(SKIP_1) | instid1(VALU_DEP_2)
	v_dual_mov_b32 v56 /*v312*/, v126 :: v_dual_mov_b32 v57 /*v313*/, v127
	s_set_vgpr_msb 5                        ;  msbs: dst=0 src0=1 src1=1 src2=0
	v_fmac_f64_e32 v[0:1], v[34:35] /*v[290:291]*/, v[84:85] /*v[340:341]*/
	s_set_vgpr_msb 4                        ;  msbs: dst=0 src0=0 src1=1 src2=0
	s_delay_alu instid0(VALU_DEP_1) | instskip(SKIP_1) | instid1(VALU_DEP_1)
	v_fmac_f64_e32 v[0:1], v[148:149], v[86:87] /*v[342:343]*/
	s_set_vgpr_msb 0                        ;  msbs: dst=0 src0=0 src1=0 src2=0
	v_fmac_f64_e32 v[106:107], v[168:169], v[0:1]
	s_set_vgpr_msb 5                        ;  msbs: dst=0 src0=1 src1=1 src2=0
	v_mul_f64_e32 v[0:1], v[72:73] /*v[328:329]*/, v[82:83] /*v[338:339]*/
	s_set_vgpr_msb 64                       ;  msbs: dst=1 src0=0 src1=0 src2=0
	s_delay_alu instid0(VALU_DEP_2) | instskip(SKIP_1) | instid1(VALU_DEP_2)
	v_dual_mov_b32 v58 /*v314*/, v106 :: v_dual_mov_b32 v59 /*v315*/, v107
	s_set_vgpr_msb 5                        ;  msbs: dst=0 src0=1 src1=1 src2=0
	v_fmac_f64_e32 v[0:1], v[78:79] /*v[334:335]*/, v[84:85] /*v[340:341]*/
	s_delay_alu instid0(VALU_DEP_1) | instskip(SKIP_1) | instid1(VALU_DEP_1)
	v_fmac_f64_e32 v[0:1], v[80:81] /*v[336:337]*/, v[86:87] /*v[342:343]*/
	s_set_vgpr_msb 0                        ;  msbs: dst=0 src0=0 src1=0 src2=0
	v_fmac_f64_e32 v[86:87], v[168:169], v[0:1]
	s_set_vgpr_msb 5                        ;  msbs: dst=0 src0=1 src1=1 src2=0
	v_mul_f64_e32 v[0:1], v[70:71] /*v[326:327]*/, v[82:83] /*v[338:339]*/
	s_set_vgpr_msb 64                       ;  msbs: dst=1 src0=0 src1=0 src2=0
	s_delay_alu instid0(VALU_DEP_2) | instskip(SKIP_1) | instid1(VALU_DEP_2)
	v_dual_mov_b32 v60 /*v316*/, v86 :: v_dual_mov_b32 v61 /*v317*/, v87
	s_set_vgpr_msb 5                        ;  msbs: dst=0 src0=1 src1=1 src2=0
	v_fmac_f64_e32 v[0:1], v[74:75] /*v[330:331]*/, v[84:85] /*v[340:341]*/
	s_delay_alu instid0(VALU_DEP_1) | instskip(SKIP_1) | instid1(VALU_DEP_1)
	v_fmac_f64_e32 v[0:1], v[76:77] /*v[332:333]*/, v[86:87] /*v[342:343]*/
	s_set_vgpr_msb 0                        ;  msbs: dst=0 src0=0 src1=0 src2=0
	v_fmac_f64_e32 v[70:71], v[168:169], v[0:1]
	s_set_vgpr_msb 5                        ;  msbs: dst=0 src0=1 src1=1 src2=0
	v_mul_f64_e32 v[0:1], v[48:49] /*v[304:305]*/, v[88:89] /*v[344:345]*/
	s_set_vgpr_msb 64                       ;  msbs: dst=1 src0=0 src1=0 src2=0
	s_delay_alu instid0(VALU_DEP_2) | instskip(SKIP_1) | instid1(VALU_DEP_2)
	v_dual_mov_b32 v62 /*v318*/, v70 :: v_dual_mov_b32 v63 /*v319*/, v71
	s_set_vgpr_msb 5                        ;  msbs: dst=0 src0=1 src1=1 src2=0
	v_fmac_f64_e32 v[0:1], v[50:51] /*v[306:307]*/, v[90:91] /*v[346:347]*/
	s_clause 0x1
	scratch_store_b128 off, v[56:59] /*v[312:315]*/, off offset:1072
	scratch_store_b128 off, v[60:63] /*v[316:319]*/, off offset:1088
	s_set_vgpr_msb 4                        ;  msbs: dst=0 src0=0 src1=1 src2=0
	v_fmac_f64_e32 v[0:1], v[170:171], v[92:93] /*v[348:349]*/
	s_set_vgpr_msb 0                        ;  msbs: dst=0 src0=0 src1=0 src2=0
	s_delay_alu instid0(VALU_DEP_1) | instskip(SKIP_4) | instid1(VALU_DEP_2)
	v_fmac_f64_e32 v[62:63], v[168:169], v[0:1]
	s_set_vgpr_msb 5                        ;  msbs: dst=0 src0=1 src1=1 src2=0
	v_mul_f64_e32 v[0:1], v[42:43] /*v[298:299]*/, v[88:89] /*v[344:345]*/
	s_wait_xcnt 0x1
	s_set_vgpr_msb 64                       ;  msbs: dst=1 src0=0 src1=0 src2=0
	v_dual_mov_b32 v56 /*v312*/, v62 :: v_dual_mov_b32 v57 /*v313*/, v63
	s_set_vgpr_msb 5                        ;  msbs: dst=0 src0=1 src1=1 src2=0
	s_delay_alu instid0(VALU_DEP_2) | instskip(SKIP_1) | instid1(VALU_DEP_1)
	v_fmac_f64_e32 v[0:1], v[40:41] /*v[296:297]*/, v[90:91] /*v[346:347]*/
	s_set_vgpr_msb 4                        ;  msbs: dst=0 src0=0 src1=1 src2=0
	v_fmac_f64_e32 v[0:1], v[164:165], v[92:93] /*v[348:349]*/
	s_set_vgpr_msb 0                        ;  msbs: dst=0 src0=0 src1=0 src2=0
	s_delay_alu instid0(VALU_DEP_1) | instskip(SKIP_3) | instid1(VALU_DEP_2)
	v_fmac_f64_e32 v[50:51], v[168:169], v[0:1]
	s_set_vgpr_msb 5                        ;  msbs: dst=0 src0=1 src1=1 src2=0
	v_mul_f64_e32 v[0:1], v[94:95] /*v[350:351]*/, v[88:89] /*v[344:345]*/
	s_set_vgpr_msb 64                       ;  msbs: dst=1 src0=0 src1=0 src2=0
	v_dual_mov_b32 v58 /*v314*/, v50 :: v_dual_mov_b32 v59 /*v315*/, v51
	s_set_vgpr_msb 5                        ;  msbs: dst=0 src0=1 src1=1 src2=0
	s_delay_alu instid0(VALU_DEP_2) | instskip(SKIP_3) | instid1(VALU_DEP_1)
	v_fmac_f64_e32 v[0:1], v[96:97] /*v[352:353]*/, v[90:91] /*v[346:347]*/
	scratch_store_b128 off, v[56:59] /*v[312:315]*/, off offset:720
	v_fmac_f64_e32 v[0:1], v[98:99] /*v[354:355]*/, v[92:93] /*v[348:349]*/
	s_set_vgpr_msb 0                        ;  msbs: dst=0 src0=0 src1=0 src2=0
	v_fmac_f64_e32 v[38:39], v[168:169], v[0:1]
	s_set_vgpr_msb 5                        ;  msbs: dst=0 src0=1 src1=1 src2=0
	v_mul_f64_e32 v[0:1], v[88:89] /*v[344:345]*/, v[88:89] /*v[344:345]*/
	s_set_vgpr_msb 0                        ;  msbs: dst=0 src0=0 src1=0 src2=0
	s_delay_alu instid0(VALU_DEP_2) | instskip(SKIP_1) | instid1(VALU_DEP_2)
	v_mov_b32_e32 v152, v38
	s_set_vgpr_msb 5                        ;  msbs: dst=0 src0=1 src1=1 src2=0
	v_fmac_f64_e32 v[0:1], v[90:91] /*v[346:347]*/, v[90:91] /*v[346:347]*/
	s_set_vgpr_msb 0                        ;  msbs: dst=0 src0=0 src1=0 src2=0
	s_delay_alu instid0(VALU_DEP_4) | instskip(SKIP_1) | instid1(VALU_DEP_2)
	v_mov_b32_e32 v153, v39
	s_set_vgpr_msb 5                        ;  msbs: dst=0 src0=1 src1=1 src2=0
	v_fmac_f64_e32 v[0:1], v[92:93] /*v[348:349]*/, v[92:93] /*v[348:349]*/
	s_set_vgpr_msb 0                        ;  msbs: dst=0 src0=0 src1=0 src2=0
	s_delay_alu instid0(VALU_DEP_1) | instskip(SKIP_2) | instid1(VALU_DEP_1)
	v_fmac_f64_e32 v[154:155], v[168:169], v[0:1]
	s_set_vgpr_msb 5                        ;  msbs: dst=0 src0=1 src1=1 src2=0
	v_mul_f64_e32 v[0:1], v[48:49] /*v[304:305]*/, v[46:47] /*v[302:303]*/
	v_fmac_f64_e32 v[0:1], v[50:51] /*v[306:307]*/, v[44:45] /*v[300:301]*/
	s_set_vgpr_msb 0                        ;  msbs: dst=0 src0=0 src1=0 src2=0
	s_delay_alu instid0(VALU_DEP_1) | instskip(NEXT) | instid1(VALU_DEP_1)
	v_fmac_f64_e32 v[0:1], v[170:171], v[172:173]
	v_fmac_f64_e32 v[58:59], v[168:169], v[0:1]
	s_set_vgpr_msb 5                        ;  msbs: dst=0 src0=1 src1=1 src2=0
	v_mul_f64_e32 v[0:1], v[42:43] /*v[298:299]*/, v[46:47] /*v[302:303]*/
	s_wait_xcnt 0x0
	s_set_vgpr_msb 64                       ;  msbs: dst=1 src0=0 src1=0 src2=0
	s_delay_alu instid0(VALU_DEP_2) | instskip(SKIP_1) | instid1(VALU_DEP_2)
	v_dual_mov_b32 v56 /*v312*/, v58 :: v_dual_mov_b32 v57 /*v313*/, v59
	s_set_vgpr_msb 5                        ;  msbs: dst=0 src0=1 src1=1 src2=0
	v_fmac_f64_e32 v[0:1], v[40:41] /*v[296:297]*/, v[44:45] /*v[300:301]*/
	s_set_vgpr_msb 0                        ;  msbs: dst=0 src0=0 src1=0 src2=0
	s_delay_alu instid0(VALU_DEP_1) | instskip(NEXT) | instid1(VALU_DEP_1)
	v_fmac_f64_e32 v[0:1], v[164:165], v[172:173]
	v_fmac_f64_e32 v[46:47], v[168:169], v[0:1]
	s_set_vgpr_msb 5                        ;  msbs: dst=0 src0=1 src1=1 src2=0
	v_mul_f64_e32 v[0:1], v[94:95] /*v[350:351]*/, v[46:47] /*v[302:303]*/
	s_set_vgpr_msb 64                       ;  msbs: dst=1 src0=0 src1=0 src2=0
	s_delay_alu instid0(VALU_DEP_2) | instskip(SKIP_1) | instid1(VALU_DEP_2)
	v_dual_mov_b32 v58 /*v314*/, v46 :: v_dual_mov_b32 v59 /*v315*/, v47
	s_set_vgpr_msb 5                        ;  msbs: dst=0 src0=1 src1=1 src2=0
	v_fmac_f64_e32 v[0:1], v[96:97] /*v[352:353]*/, v[44:45] /*v[300:301]*/
	s_set_vgpr_msb 1                        ;  msbs: dst=0 src0=1 src1=0 src2=0
	s_delay_alu instid0(VALU_DEP_1) | instskip(SKIP_1) | instid1(VALU_DEP_1)
	v_fmac_f64_e32 v[0:1], v[98:99] /*v[354:355]*/, v[172:173]
	s_set_vgpr_msb 0                        ;  msbs: dst=0 src0=0 src1=0 src2=0
	v_fmac_f64_e32 v[34:35], v[168:169], v[0:1]
	s_set_vgpr_msb 5                        ;  msbs: dst=0 src0=1 src1=1 src2=0
	v_mul_f64_e32 v[0:1], v[88:89] /*v[344:345]*/, v[46:47] /*v[302:303]*/
	s_set_vgpr_msb 64                       ;  msbs: dst=1 src0=0 src1=0 src2=0
	s_delay_alu instid0(VALU_DEP_2) | instskip(SKIP_1) | instid1(VALU_DEP_2)
	v_dual_mov_b32 v60 /*v316*/, v34 :: v_dual_mov_b32 v61 /*v317*/, v35
	s_set_vgpr_msb 5                        ;  msbs: dst=0 src0=1 src1=1 src2=0
	v_fmac_f64_e32 v[0:1], v[90:91] /*v[346:347]*/, v[44:45] /*v[300:301]*/
	s_set_vgpr_msb 1                        ;  msbs: dst=0 src0=1 src1=0 src2=0
	s_delay_alu instid0(VALU_DEP_1) | instskip(SKIP_1) | instid1(VALU_DEP_1)
	v_fmac_f64_e32 v[0:1], v[92:93] /*v[348:349]*/, v[172:173]
	s_set_vgpr_msb 0                        ;  msbs: dst=0 src0=0 src1=0 src2=0
	v_fmac_f64_e32 v[26:27], v[168:169], v[0:1]
	s_set_vgpr_msb 5                        ;  msbs: dst=0 src0=1 src1=1 src2=0
	v_mul_f64_e32 v[0:1], v[48:49] /*v[304:305]*/, v[82:83] /*v[338:339]*/
	s_set_vgpr_msb 64                       ;  msbs: dst=1 src0=0 src1=0 src2=0
	s_delay_alu instid0(VALU_DEP_2) | instskip(SKIP_1) | instid1(VALU_DEP_2)
	v_dual_mov_b32 v62 /*v318*/, v26 :: v_dual_mov_b32 v63 /*v319*/, v27
	s_set_vgpr_msb 5                        ;  msbs: dst=0 src0=1 src1=1 src2=0
	v_fmac_f64_e32 v[0:1], v[50:51] /*v[306:307]*/, v[84:85] /*v[340:341]*/
	s_clause 0x1
	scratch_store_b128 off, v[56:59] /*v[312:315]*/, off offset:912
	scratch_store_b128 off, v[60:63] /*v[316:319]*/, off offset:928
	s_set_vgpr_msb 4                        ;  msbs: dst=0 src0=0 src1=1 src2=0
	v_fmac_f64_e32 v[0:1], v[170:171], v[86:87] /*v[342:343]*/
	s_set_vgpr_msb 0                        ;  msbs: dst=0 src0=0 src1=0 src2=0
	s_delay_alu instid0(VALU_DEP_1) | instskip(SKIP_4) | instid1(VALU_DEP_2)
	v_fmac_f64_e32 v[54:55], v[168:169], v[0:1]
	s_set_vgpr_msb 5                        ;  msbs: dst=0 src0=1 src1=1 src2=0
	v_mul_f64_e32 v[0:1], v[42:43] /*v[298:299]*/, v[82:83] /*v[338:339]*/
	s_wait_xcnt 0x1
	s_set_vgpr_msb 64                       ;  msbs: dst=1 src0=0 src1=0 src2=0
	v_dual_mov_b32 v56 /*v312*/, v54 :: v_dual_mov_b32 v57 /*v313*/, v55
	s_set_vgpr_msb 5                        ;  msbs: dst=0 src0=1 src1=1 src2=0
	s_delay_alu instid0(VALU_DEP_2) | instskip(SKIP_1) | instid1(VALU_DEP_1)
	v_fmac_f64_e32 v[0:1], v[40:41] /*v[296:297]*/, v[84:85] /*v[340:341]*/
	s_set_vgpr_msb 4                        ;  msbs: dst=0 src0=0 src1=1 src2=0
	v_fmac_f64_e32 v[0:1], v[164:165], v[86:87] /*v[342:343]*/
	s_set_vgpr_msb 0                        ;  msbs: dst=0 src0=0 src1=0 src2=0
	s_delay_alu instid0(VALU_DEP_1) | instskip(SKIP_3) | instid1(VALU_DEP_2)
	v_fmac_f64_e32 v[42:43], v[168:169], v[0:1]
	s_set_vgpr_msb 5                        ;  msbs: dst=0 src0=1 src1=1 src2=0
	v_mul_f64_e32 v[0:1], v[94:95] /*v[350:351]*/, v[82:83] /*v[338:339]*/
	s_set_vgpr_msb 64                       ;  msbs: dst=1 src0=0 src1=0 src2=0
	v_dual_mov_b32 v58 /*v314*/, v42 :: v_dual_mov_b32 v59 /*v315*/, v43
	s_set_vgpr_msb 5                        ;  msbs: dst=0 src0=1 src1=1 src2=0
	s_delay_alu instid0(VALU_DEP_2) | instskip(NEXT) | instid1(VALU_DEP_1)
	v_fmac_f64_e32 v[0:1], v[96:97] /*v[352:353]*/, v[84:85] /*v[340:341]*/
	v_fmac_f64_e32 v[0:1], v[98:99] /*v[354:355]*/, v[86:87] /*v[342:343]*/
	s_set_vgpr_msb 0                        ;  msbs: dst=0 src0=0 src1=0 src2=0
	s_delay_alu instid0(VALU_DEP_1) | instskip(SKIP_4) | instid1(VALU_DEP_2)
	v_fmac_f64_e32 v[30:31], v[168:169], v[0:1]
	s_set_vgpr_msb 5                        ;  msbs: dst=0 src0=1 src1=1 src2=0
	v_mul_f64_e32 v[0:1], v[88:89] /*v[344:345]*/, v[82:83] /*v[338:339]*/
	s_wait_xcnt 0x0
	s_set_vgpr_msb 64                       ;  msbs: dst=1 src0=0 src1=0 src2=0
	v_dual_mov_b32 v60 /*v316*/, v30 :: v_dual_mov_b32 v61 /*v317*/, v31
	s_set_vgpr_msb 5                        ;  msbs: dst=0 src0=1 src1=1 src2=0
	s_delay_alu instid0(VALU_DEP_2) | instskip(NEXT) | instid1(VALU_DEP_1)
	v_fmac_f64_e32 v[0:1], v[90:91] /*v[346:347]*/, v[84:85] /*v[340:341]*/
	v_fmac_f64_e32 v[0:1], v[92:93] /*v[348:349]*/, v[86:87] /*v[342:343]*/
	s_set_vgpr_msb 0                        ;  msbs: dst=0 src0=0 src1=0 src2=0
	s_delay_alu instid0(VALU_DEP_1) | instskip(SKIP_3) | instid1(VALU_DEP_2)
	v_fmac_f64_e32 v[22:23], v[168:169], v[0:1]
	s_set_vgpr_msb 5                        ;  msbs: dst=0 src0=1 src1=1 src2=0
	v_mul_f64_e32 v[0:1], v[52:53] /*v[308:309]*/, v[82:83] /*v[338:339]*/
	s_set_vgpr_msb 64                       ;  msbs: dst=1 src0=0 src1=0 src2=0
	v_dual_mov_b32 v62 /*v318*/, v22 :: v_dual_mov_b32 v63 /*v319*/, v23
	s_set_vgpr_msb 0x45                     ;  msbs: dst=1 src0=1 src1=1 src2=0
	s_clause 0x1
	scratch_store_b128 off, v[56:59] /*v[312:315]*/, off offset:1104
	scratch_store_b128 off, v[60:63] /*v[316:319]*/, off offset:1120
	s_wait_xcnt 0x1
	v_mul_f64_e32 v[56:57] /*v[312:313]*/, v[46:47] /*v[302:303]*/, v[82:83] /*v[338:339]*/
	v_mul_f64_e32 v[58:59] /*v[314:315]*/, v[100:101] /*v[356:357]*/, v[82:83] /*v[338:339]*/
	s_set_vgpr_msb 5                        ;  msbs: dst=0 src0=1 src1=1 src2=0
	v_fmac_f64_e32 v[0:1], v[54:55] /*v[310:311]*/, v[84:85] /*v[340:341]*/
	s_wait_xcnt 0x0
	s_set_vgpr_msb 0x55                     ;  msbs: dst=1 src0=1 src1=1 src2=1
	v_mul_f64_e32 v[60:61] /*v[316:317]*/, v[82:83] /*v[338:339]*/, v[82:83] /*v[338:339]*/
	v_fma_f64 v[82:83] /*v[338:339]*/, v[2:3] /*v[258:259]*/, v[26:27] /*v[282:283]*/, v[28:29] /*v[284:285]*/
	v_fmac_f64_e32 v[56:57] /*v[312:313]*/, v[44:45] /*v[300:301]*/, v[84:85] /*v[340:341]*/
	v_fmac_f64_e32 v[58:59] /*v[314:315]*/, v[102:103] /*v[358:359]*/, v[84:85] /*v[340:341]*/
	s_set_vgpr_msb 4                        ;  msbs: dst=0 src0=0 src1=1 src2=0
	v_fmac_f64_e32 v[0:1], v[174:175], v[86:87] /*v[342:343]*/
	s_set_vgpr_msb 0x45                     ;  msbs: dst=1 src0=1 src1=1 src2=0
	v_fmac_f64_e32 v[60:61] /*v[316:317]*/, v[84:85] /*v[340:341]*/, v[84:85] /*v[340:341]*/
	s_set_vgpr_msb 0x54                     ;  msbs: dst=1 src0=0 src1=1 src2=1
	v_fma_f64 v[84:85] /*v[340:341]*/, s[4:5], v[26:27] /*v[282:283]*/, v[28:29] /*v[284:285]*/
	v_fmac_f64_e32 v[56:57] /*v[312:313]*/, v[172:173], v[86:87] /*v[342:343]*/
	s_set_vgpr_msb 0x45                     ;  msbs: dst=1 src0=1 src1=1 src2=0
	v_fmac_f64_e32 v[58:59] /*v[314:315]*/, v[104:105] /*v[360:361]*/, v[86:87] /*v[342:343]*/
	s_set_vgpr_msb 0                        ;  msbs: dst=0 src0=0 src1=0 src2=0
	v_fmac_f64_e32 v[14:15], v[168:169], v[0:1]
	s_set_vgpr_msb 0x45                     ;  msbs: dst=1 src0=1 src1=1 src2=0
	v_fmac_f64_e32 v[60:61] /*v[316:317]*/, v[86:87] /*v[342:343]*/, v[86:87] /*v[342:343]*/
	s_set_vgpr_msb 4                        ;  msbs: dst=0 src0=0 src1=1 src2=0
	s_delay_alu instid0(VALU_DEP_4) | instskip(NEXT) | instid1(VALU_DEP_4)
	v_fmac_f64_e32 v[10:11], v[168:169], v[56:57] /*v[312:313]*/
	v_fmac_f64_e32 v[6:7], v[168:169], v[58:59] /*v[314:315]*/
	s_set_vgpr_msb 64                       ;  msbs: dst=1 src0=0 src1=0 src2=0
	s_delay_alu instid0(VALU_DEP_4) | instskip(SKIP_1) | instid1(VALU_DEP_4)
	v_dual_mov_b32 v56 /*v312*/, v14 :: v_dual_mov_b32 v57 /*v313*/, v15
	s_set_vgpr_msb 4                        ;  msbs: dst=0 src0=0 src1=1 src2=0
	v_fmac_f64_e32 v[2:3], v[168:169], v[60:61] /*v[316:317]*/
	s_set_vgpr_msb 64                       ;  msbs: dst=1 src0=0 src1=0 src2=0
	s_delay_alu instid0(VALU_DEP_4) | instskip(SKIP_1) | instid1(VALU_DEP_4)
	v_dual_mov_b32 v58 /*v314*/, v10 :: v_dual_mov_b32 v59 /*v315*/, v11
	s_set_vgpr_msb 4                        ;  msbs: dst=0 src0=0 src1=1 src2=0
	v_dual_mov_b32 v0, v6 :: v_dual_mov_b32 v1, v7
	scratch_store_b128 off, v[56:59] /*v[312:315]*/, off offset:1136
	s_wait_xcnt 0x0
	s_set_vgpr_msb 0x45                     ;  msbs: dst=1 src0=1 src1=1 src2=0
	v_mul_f64_e32 v[56:57] /*v[312:313]*/, v[36:37] /*v[292:293]*/, v[72:73] /*v[328:329]*/
	s_delay_alu instid0(VALU_DEP_1) | instskip(SKIP_1) | instid1(VALU_DEP_1)
	v_fmac_f64_e32 v[56:57] /*v[312:313]*/, v[38:39] /*v[294:295]*/, v[78:79] /*v[334:335]*/
	s_set_vgpr_msb 0x44                     ;  msbs: dst=1 src0=0 src1=1 src2=0
	v_fmac_f64_e32 v[56:57] /*v[312:313]*/, v[156:157], v[80:81] /*v[336:337]*/
	s_set_vgpr_msb 4                        ;  msbs: dst=0 src0=0 src1=1 src2=0
	s_delay_alu instid0(VALU_DEP_1) | instskip(SKIP_2) | instid1(VALU_DEP_1)
	v_fmac_f64_e32 v[140:141], v[168:169], v[56:57] /*v[312:313]*/
	s_set_vgpr_msb 0x45                     ;  msbs: dst=1 src0=1 src1=1 src2=0
	v_mul_f64_e32 v[56:57] /*v[312:313]*/, v[32:33] /*v[288:289]*/, v[72:73] /*v[328:329]*/
	v_fmac_f64_e32 v[56:57] /*v[312:313]*/, v[34:35] /*v[290:291]*/, v[78:79] /*v[334:335]*/
	s_set_vgpr_msb 0x44                     ;  msbs: dst=1 src0=0 src1=1 src2=0
	s_delay_alu instid0(VALU_DEP_1) | instskip(SKIP_1) | instid1(VALU_DEP_1)
	v_fmac_f64_e32 v[56:57] /*v[312:313]*/, v[148:149], v[80:81] /*v[336:337]*/
	s_set_vgpr_msb 4                        ;  msbs: dst=0 src0=0 src1=1 src2=0
	v_fmac_f64_e32 v[120:121], v[168:169], v[56:57] /*v[312:313]*/
	s_set_vgpr_msb 0x45                     ;  msbs: dst=1 src0=1 src1=1 src2=0
	v_mul_f64_e32 v[56:57] /*v[312:313]*/, v[72:73] /*v[328:329]*/, v[72:73] /*v[328:329]*/
	s_delay_alu instid0(VALU_DEP_1) | instskip(NEXT) | instid1(VALU_DEP_1)
	v_fmac_f64_e32 v[56:57] /*v[312:313]*/, v[78:79] /*v[334:335]*/, v[78:79] /*v[334:335]*/
	v_fmac_f64_e32 v[56:57] /*v[312:313]*/, v[80:81] /*v[336:337]*/, v[80:81] /*v[336:337]*/
	s_set_vgpr_msb 4                        ;  msbs: dst=0 src0=0 src1=1 src2=0
	s_delay_alu instid0(VALU_DEP_1)
	v_fmac_f64_e32 v[100:101], v[168:169], v[56:57] /*v[312:313]*/
	s_set_vgpr_msb 64                       ;  msbs: dst=1 src0=0 src1=0 src2=0
	v_mov_b64_e32 v[58:59] /*v[314:315]*/, v[142:143]
	v_mov_b64_e32 v[56:57] /*v[312:313]*/, v[140:141]
	v_dual_mov_b32 v58 /*v314*/, v120 :: v_dual_mov_b32 v59 /*v315*/, v121
	s_set_vgpr_msb 0x45                     ;  msbs: dst=1 src0=1 src1=1 src2=0
	scratch_store_b128 off, v[56:59] /*v[312:315]*/, off offset:208
	s_wait_xcnt 0x0
	v_mul_f64_e32 v[56:57] /*v[312:313]*/, v[36:37] /*v[292:293]*/, v[48:49] /*v[304:305]*/
	s_delay_alu instid0(VALU_DEP_1) | instskip(SKIP_1) | instid1(VALU_DEP_1)
	v_fmac_f64_e32 v[56:57] /*v[312:313]*/, v[38:39] /*v[294:295]*/, v[50:51] /*v[306:307]*/
	s_set_vgpr_msb 64                       ;  msbs: dst=1 src0=0 src1=0 src2=0
	v_fmac_f64_e32 v[56:57] /*v[312:313]*/, v[156:157], v[170:171]
	s_set_vgpr_msb 4                        ;  msbs: dst=0 src0=0 src1=1 src2=0
	s_delay_alu instid0(VALU_DEP_1) | instskip(SKIP_2) | instid1(VALU_DEP_1)
	v_fmac_f64_e32 v[136:137], v[168:169], v[56:57] /*v[312:313]*/
	s_set_vgpr_msb 0x45                     ;  msbs: dst=1 src0=1 src1=1 src2=0
	v_mul_f64_e32 v[56:57] /*v[312:313]*/, v[32:33] /*v[288:289]*/, v[48:49] /*v[304:305]*/
	v_fmac_f64_e32 v[56:57] /*v[312:313]*/, v[34:35] /*v[290:291]*/, v[50:51] /*v[306:307]*/
	s_set_vgpr_msb 64                       ;  msbs: dst=1 src0=0 src1=0 src2=0
	s_delay_alu instid0(VALU_DEP_1) | instskip(SKIP_1) | instid1(VALU_DEP_1)
	v_fmac_f64_e32 v[56:57] /*v[312:313]*/, v[148:149], v[170:171]
	s_set_vgpr_msb 4                        ;  msbs: dst=0 src0=0 src1=1 src2=0
	v_fmac_f64_e32 v[116:117], v[168:169], v[56:57] /*v[312:313]*/
	s_set_vgpr_msb 0x45                     ;  msbs: dst=1 src0=1 src1=1 src2=0
	v_mul_f64_e32 v[56:57] /*v[312:313]*/, v[72:73] /*v[328:329]*/, v[48:49] /*v[304:305]*/
	s_delay_alu instid0(VALU_DEP_1) | instskip(SKIP_1) | instid1(VALU_DEP_1)
	v_fmac_f64_e32 v[56:57] /*v[312:313]*/, v[78:79] /*v[334:335]*/, v[50:51] /*v[306:307]*/
	s_set_vgpr_msb 0x41                     ;  msbs: dst=1 src0=1 src1=0 src2=0
	v_fmac_f64_e32 v[56:57] /*v[312:313]*/, v[80:81] /*v[336:337]*/, v[170:171]
	s_set_vgpr_msb 4                        ;  msbs: dst=0 src0=0 src1=1 src2=0
	s_delay_alu instid0(VALU_DEP_1) | instskip(SKIP_4) | instid1(VALU_DEP_3)
	v_fmac_f64_e32 v[96:97], v[168:169], v[56:57] /*v[312:313]*/
	s_set_vgpr_msb 0x45                     ;  msbs: dst=1 src0=1 src1=1 src2=0
	v_mul_f64_e32 v[56:57] /*v[312:313]*/, v[70:71] /*v[326:327]*/, v[48:49] /*v[304:305]*/
	s_set_vgpr_msb 64                       ;  msbs: dst=1 src0=0 src1=0 src2=0
	v_mov_b64_e32 v[62:63] /*v[318:319]*/, v[98:99]
	v_mov_b64_e32 v[60:61] /*v[316:317]*/, v[96:97]
	s_set_vgpr_msb 0x45                     ;  msbs: dst=1 src0=1 src1=1 src2=0
	s_delay_alu instid0(VALU_DEP_3) | instskip(SKIP_1) | instid1(VALU_DEP_1)
	v_fmac_f64_e32 v[56:57] /*v[312:313]*/, v[74:75] /*v[330:331]*/, v[50:51] /*v[306:307]*/
	s_set_vgpr_msb 0x41                     ;  msbs: dst=1 src0=1 src1=0 src2=0
	v_fmac_f64_e32 v[56:57] /*v[312:313]*/, v[76:77] /*v[332:333]*/, v[170:171]
	s_set_vgpr_msb 4                        ;  msbs: dst=0 src0=0 src1=1 src2=0
	s_delay_alu instid0(VALU_DEP_1) | instskip(SKIP_4) | instid1(VALU_DEP_4)
	v_fmac_f64_e32 v[80:81], v[168:169], v[56:57] /*v[312:313]*/
	s_set_vgpr_msb 64                       ;  msbs: dst=1 src0=0 src1=0 src2=0
	v_mov_b64_e32 v[58:59] /*v[314:315]*/, v[138:139]
	v_mov_b64_e32 v[56:57] /*v[312:313]*/, v[136:137]
	v_dual_mov_b32 v58 /*v314*/, v116 :: v_dual_mov_b32 v59 /*v315*/, v117
	v_dual_mov_b32 v62 /*v318*/, v80 :: v_dual_mov_b32 v63 /*v319*/, v81
	s_set_vgpr_msb 0x45                     ;  msbs: dst=1 src0=1 src1=1 src2=0
	s_clause 0x1
	scratch_store_b128 off, v[56:59] /*v[312:315]*/, off offset:400
	scratch_store_b128 off, v[60:63] /*v[316:319]*/, off offset:416
	s_wait_xcnt 0x1
	v_mul_f64_e32 v[56:57] /*v[312:313]*/, v[36:37] /*v[292:293]*/, v[94:95] /*v[350:351]*/
	s_delay_alu instid0(VALU_DEP_1) | instskip(SKIP_1) | instid1(VALU_DEP_1)
	v_fmac_f64_e32 v[56:57] /*v[312:313]*/, v[38:39] /*v[294:295]*/, v[96:97] /*v[352:353]*/
	s_set_vgpr_msb 0x44                     ;  msbs: dst=1 src0=0 src1=1 src2=0
	v_fmac_f64_e32 v[56:57] /*v[312:313]*/, v[156:157], v[98:99] /*v[354:355]*/
	s_set_vgpr_msb 4                        ;  msbs: dst=0 src0=0 src1=1 src2=0
	s_delay_alu instid0(VALU_DEP_1) | instskip(SKIP_2) | instid1(VALU_DEP_1)
	v_fmac_f64_e32 v[132:133], v[168:169], v[56:57] /*v[312:313]*/
	s_set_vgpr_msb 0x45                     ;  msbs: dst=1 src0=1 src1=1 src2=0
	v_mul_f64_e32 v[56:57] /*v[312:313]*/, v[32:33] /*v[288:289]*/, v[94:95] /*v[350:351]*/
	v_fmac_f64_e32 v[56:57] /*v[312:313]*/, v[34:35] /*v[290:291]*/, v[96:97] /*v[352:353]*/
	s_set_vgpr_msb 0x44                     ;  msbs: dst=1 src0=0 src1=1 src2=0
	s_delay_alu instid0(VALU_DEP_1) | instskip(SKIP_1) | instid1(VALU_DEP_1)
	v_fmac_f64_e32 v[56:57] /*v[312:313]*/, v[148:149], v[98:99] /*v[354:355]*/
	s_set_vgpr_msb 4                        ;  msbs: dst=0 src0=0 src1=1 src2=0
	v_fmac_f64_e32 v[112:113], v[168:169], v[56:57] /*v[312:313]*/
	s_set_vgpr_msb 0x45                     ;  msbs: dst=1 src0=1 src1=1 src2=0
	v_mul_f64_e32 v[56:57] /*v[312:313]*/, v[72:73] /*v[328:329]*/, v[94:95] /*v[350:351]*/
	s_delay_alu instid0(VALU_DEP_1) | instskip(NEXT) | instid1(VALU_DEP_1)
	v_fmac_f64_e32 v[56:57] /*v[312:313]*/, v[78:79] /*v[334:335]*/, v[96:97] /*v[352:353]*/
	v_fmac_f64_e32 v[56:57] /*v[312:313]*/, v[80:81] /*v[336:337]*/, v[98:99] /*v[354:355]*/
	s_set_vgpr_msb 4                        ;  msbs: dst=0 src0=0 src1=1 src2=0
	s_delay_alu instid0(VALU_DEP_1)
	v_fmac_f64_e32 v[92:93], v[168:169], v[56:57] /*v[312:313]*/
	s_set_vgpr_msb 0x45                     ;  msbs: dst=1 src0=1 src1=1 src2=0
	v_mul_f64_e32 v[56:57] /*v[312:313]*/, v[70:71] /*v[326:327]*/, v[94:95] /*v[350:351]*/
	s_wait_xcnt 0x0
	s_set_vgpr_msb 64                       ;  msbs: dst=1 src0=0 src1=0 src2=0
	v_mov_b64_e32 v[62:63] /*v[318:319]*/, v[94:95]
	s_delay_alu instid0(VALU_DEP_3) | instskip(SKIP_1) | instid1(VALU_DEP_3)
	v_mov_b64_e32 v[60:61] /*v[316:317]*/, v[92:93]
	s_set_vgpr_msb 0x45                     ;  msbs: dst=1 src0=1 src1=1 src2=0
	v_fmac_f64_e32 v[56:57] /*v[312:313]*/, v[74:75] /*v[330:331]*/, v[96:97] /*v[352:353]*/
	s_delay_alu instid0(VALU_DEP_1) | instskip(SKIP_1) | instid1(VALU_DEP_1)
	v_fmac_f64_e32 v[56:57] /*v[312:313]*/, v[76:77] /*v[332:333]*/, v[98:99] /*v[354:355]*/
	s_set_vgpr_msb 4                        ;  msbs: dst=0 src0=0 src1=1 src2=0
	v_fmac_f64_e32 v[76:77], v[168:169], v[56:57] /*v[312:313]*/
	s_set_vgpr_msb 64                       ;  msbs: dst=1 src0=0 src1=0 src2=0
	v_mov_b64_e32 v[58:59] /*v[314:315]*/, v[134:135]
	v_mov_b64_e32 v[56:57] /*v[312:313]*/, v[132:133]
	v_dual_mov_b32 v58 /*v314*/, v112 :: v_dual_mov_b32 v59 /*v315*/, v113
	s_delay_alu instid0(VALU_DEP_4)
	v_dual_mov_b32 v62 /*v318*/, v76 :: v_dual_mov_b32 v63 /*v319*/, v77
	s_set_vgpr_msb 0x45                     ;  msbs: dst=1 src0=1 src1=1 src2=0
	s_clause 0x1
	scratch_store_b128 off, v[56:59] /*v[312:315]*/, off offset:592
	scratch_store_b128 off, v[60:63] /*v[316:319]*/, off offset:608
	s_wait_xcnt 0x1
	v_mul_f64_e32 v[56:57] /*v[312:313]*/, v[36:37] /*v[292:293]*/, v[52:53] /*v[308:309]*/
	s_delay_alu instid0(VALU_DEP_1) | instskip(SKIP_1) | instid1(VALU_DEP_1)
	v_fmac_f64_e32 v[56:57] /*v[312:313]*/, v[38:39] /*v[294:295]*/, v[54:55] /*v[310:311]*/
	s_set_vgpr_msb 64                       ;  msbs: dst=1 src0=0 src1=0 src2=0
	v_fmac_f64_e32 v[56:57] /*v[312:313]*/, v[156:157], v[174:175]
	s_set_vgpr_msb 4                        ;  msbs: dst=0 src0=0 src1=1 src2=0
	s_delay_alu instid0(VALU_DEP_1) | instskip(SKIP_2) | instid1(VALU_DEP_1)
	v_fmac_f64_e32 v[128:129], v[168:169], v[56:57] /*v[312:313]*/
	s_set_vgpr_msb 0x45                     ;  msbs: dst=1 src0=1 src1=1 src2=0
	v_mul_f64_e32 v[56:57] /*v[312:313]*/, v[32:33] /*v[288:289]*/, v[52:53] /*v[308:309]*/
	v_fmac_f64_e32 v[56:57] /*v[312:313]*/, v[34:35] /*v[290:291]*/, v[54:55] /*v[310:311]*/
	s_set_vgpr_msb 64                       ;  msbs: dst=1 src0=0 src1=0 src2=0
	s_delay_alu instid0(VALU_DEP_1) | instskip(SKIP_1) | instid1(VALU_DEP_1)
	v_fmac_f64_e32 v[56:57] /*v[312:313]*/, v[148:149], v[174:175]
	s_set_vgpr_msb 4                        ;  msbs: dst=0 src0=0 src1=1 src2=0
	v_fmac_f64_e32 v[108:109], v[168:169], v[56:57] /*v[312:313]*/
	s_set_vgpr_msb 0x45                     ;  msbs: dst=1 src0=1 src1=1 src2=0
	v_mul_f64_e32 v[56:57] /*v[312:313]*/, v[72:73] /*v[328:329]*/, v[52:53] /*v[308:309]*/
	s_delay_alu instid0(VALU_DEP_1) | instskip(SKIP_1) | instid1(VALU_DEP_1)
	v_fmac_f64_e32 v[56:57] /*v[312:313]*/, v[78:79] /*v[334:335]*/, v[54:55] /*v[310:311]*/
	s_set_vgpr_msb 0x41                     ;  msbs: dst=1 src0=1 src1=0 src2=0
	v_fmac_f64_e32 v[56:57] /*v[312:313]*/, v[80:81] /*v[336:337]*/, v[174:175]
	s_set_vgpr_msb 4                        ;  msbs: dst=0 src0=0 src1=1 src2=0
	s_delay_alu instid0(VALU_DEP_1)
	v_fmac_f64_e32 v[88:89], v[168:169], v[56:57] /*v[312:313]*/
	s_set_vgpr_msb 0x45                     ;  msbs: dst=1 src0=1 src1=1 src2=0
	v_mul_f64_e32 v[56:57] /*v[312:313]*/, v[70:71] /*v[326:327]*/, v[52:53] /*v[308:309]*/
	s_wait_xcnt 0x0
	s_set_vgpr_msb 64                       ;  msbs: dst=1 src0=0 src1=0 src2=0
	v_mov_b64_e32 v[62:63] /*v[318:319]*/, v[90:91]
	s_delay_alu instid0(VALU_DEP_3) | instskip(SKIP_1) | instid1(VALU_DEP_3)
	v_mov_b64_e32 v[60:61] /*v[316:317]*/, v[88:89]
	s_set_vgpr_msb 0x45                     ;  msbs: dst=1 src0=1 src1=1 src2=0
	v_fmac_f64_e32 v[56:57] /*v[312:313]*/, v[74:75] /*v[330:331]*/, v[54:55] /*v[310:311]*/
	s_set_vgpr_msb 0x41                     ;  msbs: dst=1 src0=1 src1=0 src2=0
	s_delay_alu instid0(VALU_DEP_1) | instskip(SKIP_1) | instid1(VALU_DEP_1)
	v_fmac_f64_e32 v[56:57] /*v[312:313]*/, v[76:77] /*v[332:333]*/, v[174:175]
	s_set_vgpr_msb 4                        ;  msbs: dst=0 src0=0 src1=1 src2=0
	v_fmac_f64_e32 v[72:73], v[168:169], v[56:57] /*v[312:313]*/
	s_set_vgpr_msb 64                       ;  msbs: dst=1 src0=0 src1=0 src2=0
	v_mov_b64_e32 v[58:59] /*v[314:315]*/, v[130:131]
	v_mov_b64_e32 v[56:57] /*v[312:313]*/, v[128:129]
	v_dual_mov_b32 v58 /*v314*/, v108 :: v_dual_mov_b32 v59 /*v315*/, v109
	s_delay_alu instid0(VALU_DEP_4)
	v_dual_mov_b32 v62 /*v318*/, v72 :: v_dual_mov_b32 v63 /*v319*/, v73
	s_set_vgpr_msb 0x45                     ;  msbs: dst=1 src0=1 src1=1 src2=0
	s_clause 0x1
	scratch_store_b128 off, v[56:59] /*v[312:315]*/, off offset:784
	scratch_store_b128 off, v[60:63] /*v[316:319]*/, off offset:800
	s_wait_xcnt 0x0
	v_mul_f64_e32 v[60:61] /*v[316:317]*/, v[36:37] /*v[292:293]*/, v[100:101] /*v[356:357]*/
	v_mul_f64_e32 v[56:57] /*v[312:313]*/, v[72:73] /*v[328:329]*/, v[100:101] /*v[356:357]*/
	;; [unrolled: 1-line block ×3, first 2 shown]
	s_delay_alu instid0(VALU_DEP_3) | instskip(NEXT) | instid1(VALU_DEP_3)
	v_fmac_f64_e32 v[60:61] /*v[316:317]*/, v[38:39] /*v[294:295]*/, v[102:103] /*v[358:359]*/
	v_fmac_f64_e32 v[56:57] /*v[312:313]*/, v[78:79] /*v[334:335]*/, v[102:103] /*v[358:359]*/
	s_delay_alu instid0(VALU_DEP_3)
	v_fmac_f64_e32 v[58:59] /*v[314:315]*/, v[74:75] /*v[330:331]*/, v[102:103] /*v[358:359]*/
	v_mul_f64_e32 v[74:75] /*v[330:331]*/, 0, v[26:27] /*v[282:283]*/
	s_set_vgpr_msb 0x51                     ;  msbs: dst=1 src0=1 src1=0 src2=1
	v_fma_f64 v[78:79] /*v[334:335]*/, -v[26:27] /*v[282:283]*/, s[4:5], v[28:29] /*v[284:285]*/
	s_set_vgpr_msb 0x44                     ;  msbs: dst=1 src0=0 src1=1 src2=0
	v_fmac_f64_e32 v[60:61] /*v[316:317]*/, v[156:157], v[104:105] /*v[360:361]*/
	s_set_vgpr_msb 0x45                     ;  msbs: dst=1 src0=1 src1=1 src2=0
	v_fmac_f64_e32 v[56:57] /*v[312:313]*/, v[80:81] /*v[336:337]*/, v[104:105] /*v[360:361]*/
	v_fmac_f64_e32 v[58:59] /*v[314:315]*/, v[76:77] /*v[332:333]*/, v[104:105] /*v[360:361]*/
	s_set_vgpr_msb 0x55                     ;  msbs: dst=1 src0=1 src1=1 src2=1
	v_fma_f64 v[72:73] /*v[328:329]*/, v[24:25] /*v[280:281]*/, -s[6:7], v[74:75] /*v[330:331]*/
	v_fma_f64 v[134:135] /*v[390:391]*/, v[4:5] /*v[260:261]*/, v[24:25] /*v[280:281]*/, v[74:75] /*v[330:331]*/
	s_set_vgpr_msb 4                        ;  msbs: dst=0 src0=0 src1=1 src2=0
	v_fmac_f64_e32 v[124:125], v[168:169], v[60:61] /*v[316:317]*/
	s_set_vgpr_msb 0x45                     ;  msbs: dst=1 src0=1 src1=1 src2=0
	v_mul_f64_e32 v[60:61] /*v[316:317]*/, v[32:33] /*v[288:289]*/, v[100:101] /*v[356:357]*/
	s_set_vgpr_msb 4                        ;  msbs: dst=0 src0=0 src1=1 src2=0
	v_fmac_f64_e32 v[84:85], v[168:169], v[56:57] /*v[312:313]*/
	v_fmac_f64_e32 v[68:69], v[168:169], v[58:59] /*v[314:315]*/
	s_set_vgpr_msb 64                       ;  msbs: dst=1 src0=0 src1=0 src2=0
	v_mov_b64_e32 v[58:59] /*v[314:315]*/, v[126:127]
	v_mov_b64_e32 v[56:57] /*v[312:313]*/, v[124:125]
	s_set_vgpr_msb 0x45                     ;  msbs: dst=1 src0=1 src1=1 src2=0
	v_fmac_f64_e32 v[60:61] /*v[316:317]*/, v[34:35] /*v[290:291]*/, v[102:103] /*v[358:359]*/
	s_set_vgpr_msb 0x44                     ;  msbs: dst=1 src0=0 src1=1 src2=0
	s_delay_alu instid0(VALU_DEP_1) | instskip(SKIP_1) | instid1(VALU_DEP_1)
	v_fmac_f64_e32 v[60:61] /*v[316:317]*/, v[148:149], v[104:105] /*v[360:361]*/
	s_set_vgpr_msb 4                        ;  msbs: dst=0 src0=0 src1=1 src2=0
	v_fmac_f64_e32 v[104:105], v[168:169], v[60:61] /*v[316:317]*/
	s_set_vgpr_msb 64                       ;  msbs: dst=1 src0=0 src1=0 src2=0
	v_mov_b64_e32 v[62:63] /*v[318:319]*/, v[86:87]
	v_mov_b64_e32 v[60:61] /*v[316:317]*/, v[84:85]
	v_dual_mov_b32 v62 /*v318*/, v68 :: v_dual_mov_b32 v63 /*v319*/, v69
	s_delay_alu instid0(VALU_DEP_4)
	v_dual_mov_b32 v58 /*v314*/, v104 :: v_dual_mov_b32 v59 /*v315*/, v105
	s_set_vgpr_msb 0x45                     ;  msbs: dst=1 src0=1 src1=1 src2=0
	s_clause 0x1
	scratch_store_b128 off, v[56:59] /*v[312:315]*/, off offset:976
	scratch_store_b128 off, v[60:63] /*v[316:319]*/, off offset:992
	s_wait_xcnt 0x1
	v_mul_f64_e32 v[56:57] /*v[312:313]*/, v[48:49] /*v[304:305]*/, v[94:95] /*v[350:351]*/
	s_delay_alu instid0(VALU_DEP_1) | instskip(SKIP_1) | instid1(VALU_DEP_1)
	v_fmac_f64_e32 v[56:57] /*v[312:313]*/, v[50:51] /*v[306:307]*/, v[96:97] /*v[352:353]*/
	s_set_vgpr_msb 0x44                     ;  msbs: dst=1 src0=0 src1=1 src2=0
	v_fmac_f64_e32 v[56:57] /*v[312:313]*/, v[170:171], v[98:99] /*v[354:355]*/
	s_set_vgpr_msb 4                        ;  msbs: dst=0 src0=0 src1=1 src2=0
	s_delay_alu instid0(VALU_DEP_1) | instskip(SKIP_2) | instid1(VALU_DEP_1)
	v_fmac_f64_e32 v[60:61], v[168:169], v[56:57] /*v[312:313]*/
	s_set_vgpr_msb 0x45                     ;  msbs: dst=1 src0=1 src1=1 src2=0
	v_mul_f64_e32 v[56:57] /*v[312:313]*/, v[42:43] /*v[298:299]*/, v[94:95] /*v[350:351]*/
	v_fmac_f64_e32 v[56:57] /*v[312:313]*/, v[40:41] /*v[296:297]*/, v[96:97] /*v[352:353]*/
	s_set_vgpr_msb 0x44                     ;  msbs: dst=1 src0=0 src1=1 src2=0
	s_delay_alu instid0(VALU_DEP_1) | instskip(SKIP_1) | instid1(VALU_DEP_1)
	v_fmac_f64_e32 v[56:57] /*v[312:313]*/, v[164:165], v[98:99] /*v[354:355]*/
	s_set_vgpr_msb 4                        ;  msbs: dst=0 src0=0 src1=1 src2=0
	v_fmac_f64_e32 v[48:49], v[168:169], v[56:57] /*v[312:313]*/
	s_set_vgpr_msb 0x45                     ;  msbs: dst=1 src0=1 src1=1 src2=0
	v_mul_f64_e32 v[56:57] /*v[312:313]*/, v[94:95] /*v[350:351]*/, v[94:95] /*v[350:351]*/
	s_delay_alu instid0(VALU_DEP_1) | instskip(NEXT) | instid1(VALU_DEP_1)
	v_fmac_f64_e32 v[56:57] /*v[312:313]*/, v[96:97] /*v[352:353]*/, v[96:97] /*v[352:353]*/
	v_fmac_f64_e32 v[56:57] /*v[312:313]*/, v[98:99] /*v[354:355]*/, v[98:99] /*v[354:355]*/
	s_set_vgpr_msb 4                        ;  msbs: dst=0 src0=0 src1=1 src2=0
	s_delay_alu instid0(VALU_DEP_1)
	v_fmac_f64_e32 v[36:37], v[168:169], v[56:57] /*v[312:313]*/
	s_set_vgpr_msb 64                       ;  msbs: dst=1 src0=0 src1=0 src2=0
	v_mov_b64_e32 v[58:59] /*v[314:315]*/, v[62:63]
	v_mov_b64_e32 v[56:57] /*v[312:313]*/, v[60:61]
	v_dual_mov_b32 v58 /*v314*/, v48 :: v_dual_mov_b32 v59 /*v315*/, v49
	s_set_vgpr_msb 0x45                     ;  msbs: dst=1 src0=1 src1=1 src2=0
	scratch_store_b128 off, v[56:59] /*v[312:315]*/, off offset:624
	s_wait_xcnt 0x0
	v_mul_f64_e32 v[56:57] /*v[312:313]*/, v[48:49] /*v[304:305]*/, v[52:53] /*v[308:309]*/
	s_delay_alu instid0(VALU_DEP_1) | instskip(SKIP_1) | instid1(VALU_DEP_1)
	v_fmac_f64_e32 v[56:57] /*v[312:313]*/, v[50:51] /*v[306:307]*/, v[54:55] /*v[310:311]*/
	s_set_vgpr_msb 64                       ;  msbs: dst=1 src0=0 src1=0 src2=0
	v_fmac_f64_e32 v[56:57] /*v[312:313]*/, v[170:171], v[174:175]
	s_set_vgpr_msb 4                        ;  msbs: dst=0 src0=0 src1=1 src2=0
	s_delay_alu instid0(VALU_DEP_1) | instskip(SKIP_2) | instid1(VALU_DEP_1)
	v_fmac_f64_e32 v[56:57], v[168:169], v[56:57] /*v[312:313]*/
	s_set_vgpr_msb 0x45                     ;  msbs: dst=1 src0=1 src1=1 src2=0
	v_mul_f64_e32 v[56:57] /*v[312:313]*/, v[42:43] /*v[298:299]*/, v[52:53] /*v[308:309]*/
	v_fmac_f64_e32 v[56:57] /*v[312:313]*/, v[40:41] /*v[296:297]*/, v[54:55] /*v[310:311]*/
	s_set_vgpr_msb 64                       ;  msbs: dst=1 src0=0 src1=0 src2=0
	s_delay_alu instid0(VALU_DEP_1) | instskip(SKIP_1) | instid1(VALU_DEP_1)
	v_fmac_f64_e32 v[56:57] /*v[312:313]*/, v[164:165], v[174:175]
	s_set_vgpr_msb 4                        ;  msbs: dst=0 src0=0 src1=1 src2=0
	v_fmac_f64_e32 v[44:45], v[168:169], v[56:57] /*v[312:313]*/
	s_set_vgpr_msb 0x45                     ;  msbs: dst=1 src0=1 src1=1 src2=0
	v_mul_f64_e32 v[56:57] /*v[312:313]*/, v[94:95] /*v[350:351]*/, v[52:53] /*v[308:309]*/
	s_delay_alu instid0(VALU_DEP_1) | instskip(SKIP_1) | instid1(VALU_DEP_1)
	v_fmac_f64_e32 v[56:57] /*v[312:313]*/, v[96:97] /*v[352:353]*/, v[54:55] /*v[310:311]*/
	s_set_vgpr_msb 0x41                     ;  msbs: dst=1 src0=1 src1=0 src2=0
	v_fmac_f64_e32 v[56:57] /*v[312:313]*/, v[98:99] /*v[354:355]*/, v[174:175]
	s_set_vgpr_msb 4                        ;  msbs: dst=0 src0=0 src1=1 src2=0
	s_delay_alu instid0(VALU_DEP_1) | instskip(SKIP_4) | instid1(VALU_DEP_3)
	v_fmac_f64_e32 v[32:33], v[168:169], v[56:57] /*v[312:313]*/
	s_set_vgpr_msb 0x45                     ;  msbs: dst=1 src0=1 src1=1 src2=0
	v_mul_f64_e32 v[56:57] /*v[312:313]*/, v[88:89] /*v[344:345]*/, v[52:53] /*v[308:309]*/
	s_set_vgpr_msb 64                       ;  msbs: dst=1 src0=0 src1=0 src2=0
	v_mov_b64_e32 v[62:63] /*v[318:319]*/, v[34:35]
	v_mov_b64_e32 v[60:61] /*v[316:317]*/, v[32:33]
	s_set_vgpr_msb 0x45                     ;  msbs: dst=1 src0=1 src1=1 src2=0
	s_delay_alu instid0(VALU_DEP_3) | instskip(SKIP_1) | instid1(VALU_DEP_1)
	v_fmac_f64_e32 v[56:57] /*v[312:313]*/, v[90:91] /*v[346:347]*/, v[54:55] /*v[310:311]*/
	s_set_vgpr_msb 0x41                     ;  msbs: dst=1 src0=1 src1=0 src2=0
	v_fmac_f64_e32 v[56:57] /*v[312:313]*/, v[92:93] /*v[348:349]*/, v[174:175]
	s_set_vgpr_msb 4                        ;  msbs: dst=0 src0=0 src1=1 src2=0
	s_delay_alu instid0(VALU_DEP_1) | instskip(SKIP_4) | instid1(VALU_DEP_4)
	v_fmac_f64_e32 v[24:25], v[168:169], v[56:57] /*v[312:313]*/
	s_set_vgpr_msb 64                       ;  msbs: dst=1 src0=0 src1=0 src2=0
	v_mov_b64_e32 v[58:59] /*v[314:315]*/, v[58:59]
	v_mov_b64_e32 v[56:57] /*v[312:313]*/, v[56:57]
	v_dual_mov_b32 v58 /*v314*/, v44 :: v_dual_mov_b32 v59 /*v315*/, v45
	v_dual_mov_b32 v62 /*v318*/, v24 :: v_dual_mov_b32 v63 /*v319*/, v25
	s_set_vgpr_msb 0x55                     ;  msbs: dst=1 src0=1 src1=1 src2=1
	s_clause 0x1
	scratch_store_b128 off, v[56:59] /*v[312:315]*/, off offset:816
	scratch_store_b128 off, v[60:63] /*v[316:319]*/, off offset:832
	s_wait_xcnt 0x0
	v_mul_f64_e32 v[60:61] /*v[316:317]*/, v[48:49] /*v[304:305]*/, v[100:101] /*v[356:357]*/
	v_mul_f64_e32 v[56:57] /*v[312:313]*/, v[94:95] /*v[350:351]*/, v[100:101] /*v[356:357]*/
	;; [unrolled: 1-line block ×3, first 2 shown]
	v_fma_f64 v[88:89] /*v[344:345]*/, -v[26:27] /*v[282:283]*/, v[2:3] /*v[258:259]*/, v[28:29] /*v[284:285]*/
	v_mul_f64_e64 v[28:29] /*v[284:285]*/, v[22:23] /*v[278:279]*/, -v[4:5] /*v[260:261]*/
	v_fmac_f64_e32 v[60:61] /*v[316:317]*/, v[50:51] /*v[306:307]*/, v[102:103] /*v[358:359]*/
	v_fmac_f64_e32 v[56:57] /*v[312:313]*/, v[96:97] /*v[352:353]*/, v[102:103] /*v[358:359]*/
	;; [unrolled: 1-line block ×3, first 2 shown]
	s_set_vgpr_msb 0x50                     ;  msbs: dst=1 src0=0 src1=0 src2=1
	v_mul_f64_e32 v[90:91] /*v[346:347]*/, 0, v[182:183]
	v_fma_f64 v[70:71] /*v[326:327]*/, v[182:183], -s[4:5], v[28:29] /*v[284:285]*/
	s_set_vgpr_msb 0x44                     ;  msbs: dst=1 src0=0 src1=1 src2=0
	v_fmac_f64_e32 v[60:61] /*v[316:317]*/, v[170:171], v[104:105] /*v[360:361]*/
	s_set_vgpr_msb 0x55                     ;  msbs: dst=1 src0=1 src1=1 src2=1
	v_fmac_f64_e32 v[56:57] /*v[312:313]*/, v[98:99] /*v[354:355]*/, v[104:105] /*v[360:361]*/
	v_fmac_f64_e32 v[58:59] /*v[314:315]*/, v[92:93] /*v[348:349]*/, v[104:105] /*v[360:361]*/
	v_fma_f64 v[92:93] /*v[348:349]*/, v[24:25] /*v[280:281]*/, -v[4:5] /*v[260:261]*/, v[74:75] /*v[330:331]*/
	v_fmac_f64_e32 v[74:75] /*v[330:331]*/, s[6:7], v[24:25] /*v[280:281]*/
	v_fma_f64 v[96:97] /*v[352:353]*/, v[22:23] /*v[278:279]*/, -v[4:5] /*v[260:261]*/, v[90:91] /*v[346:347]*/
	v_fma_f64 v[94:95] /*v[350:351]*/, v[22:23] /*v[278:279]*/, -s[6:7], v[90:91] /*v[346:347]*/
	v_fma_f64 v[146:147] /*v[402:403]*/, v[4:5] /*v[260:261]*/, v[22:23] /*v[278:279]*/, v[90:91] /*v[346:347]*/
	v_fmac_f64_e32 v[90:91] /*v[346:347]*/, s[6:7], v[22:23] /*v[278:279]*/
	s_set_vgpr_msb 4                        ;  msbs: dst=0 src0=0 src1=1 src2=0
	v_fmac_f64_e32 v[52:53], v[168:169], v[60:61] /*v[316:317]*/
	s_set_vgpr_msb 0x45                     ;  msbs: dst=1 src0=1 src1=1 src2=0
	v_mul_f64_e32 v[60:61] /*v[316:317]*/, v[42:43] /*v[298:299]*/, v[100:101] /*v[356:357]*/
	s_set_vgpr_msb 4                        ;  msbs: dst=0 src0=0 src1=1 src2=0
	v_fmac_f64_e32 v[28:29], v[168:169], v[56:57] /*v[312:313]*/
	v_fmac_f64_e32 v[20:21], v[168:169], v[58:59] /*v[314:315]*/
	s_set_vgpr_msb 64                       ;  msbs: dst=1 src0=0 src1=0 src2=0
	v_mov_b64_e32 v[58:59] /*v[314:315]*/, v[54:55]
	v_mov_b64_e32 v[56:57] /*v[312:313]*/, v[52:53]
	s_set_vgpr_msb 0x45                     ;  msbs: dst=1 src0=1 src1=1 src2=0
	v_fmac_f64_e32 v[60:61] /*v[316:317]*/, v[40:41] /*v[296:297]*/, v[102:103] /*v[358:359]*/
	s_set_vgpr_msb 0x44                     ;  msbs: dst=1 src0=0 src1=1 src2=0
	s_delay_alu instid0(VALU_DEP_1) | instskip(SKIP_1) | instid1(VALU_DEP_1)
	v_fmac_f64_e32 v[60:61] /*v[316:317]*/, v[164:165], v[104:105] /*v[360:361]*/
	s_set_vgpr_msb 4                        ;  msbs: dst=0 src0=0 src1=1 src2=0
	v_fmac_f64_e32 v[40:41], v[168:169], v[60:61] /*v[316:317]*/
	s_set_vgpr_msb 64                       ;  msbs: dst=1 src0=0 src1=0 src2=0
	v_mov_b64_e32 v[62:63] /*v[318:319]*/, v[30:31]
	v_mov_b64_e32 v[60:61] /*v[316:317]*/, v[28:29]
	v_dual_mov_b32 v62 /*v318*/, v20 :: v_dual_mov_b32 v63 /*v319*/, v21
	s_delay_alu instid0(VALU_DEP_4)
	v_dual_mov_b32 v58 /*v314*/, v40 :: v_dual_mov_b32 v59 /*v315*/, v41
	s_set_vgpr_msb 0x45                     ;  msbs: dst=1 src0=1 src1=1 src2=0
	s_clause 0x1
	scratch_store_b128 off, v[56:59] /*v[312:315]*/, off offset:1008
	scratch_store_b128 off, v[60:63] /*v[316:319]*/, off offset:1024
	s_wait_xcnt 0x1
	v_mul_f64_e32 v[56:57] /*v[312:313]*/, v[52:53] /*v[308:309]*/, v[100:101] /*v[356:357]*/
	v_mul_f64_e32 v[58:59] /*v[314:315]*/, v[46:47] /*v[302:303]*/, v[100:101] /*v[356:357]*/
	s_wait_xcnt 0x0
	v_mul_f64_e32 v[60:61] /*v[316:317]*/, v[100:101] /*v[356:357]*/, v[100:101] /*v[356:357]*/
	s_set_vgpr_msb 0                        ;  msbs: dst=0 src0=0 src1=0 src2=0
	s_clause 0x1a
	scratch_store_b128 off, v[136:139], off offset:48
	scratch_store_b128 off, v[132:135], off offset:64
	;; [unrolled: 1-line block ×27, first 2 shown]
	s_wait_xcnt 0x0
	v_cndmask_b32_e64 v0, 0, 1, s13
	s_mov_b32 s13, 0
	s_set_vgpr_msb 0x45                     ;  msbs: dst=1 src0=1 src1=1 src2=0
	v_fmac_f64_e32 v[56:57] /*v[312:313]*/, v[54:55] /*v[310:311]*/, v[102:103] /*v[358:359]*/
	v_fmac_f64_e32 v[58:59] /*v[314:315]*/, v[44:45] /*v[300:301]*/, v[102:103] /*v[358:359]*/
	v_fmac_f64_e32 v[60:61] /*v[316:317]*/, v[102:103] /*v[358:359]*/, v[102:103] /*v[358:359]*/
	s_set_vgpr_msb 0x44                     ;  msbs: dst=1 src0=0 src1=1 src2=0
	v_mul_f64_e32 v[102:103] /*v[358:359]*/, v[178:179], v[66:67] /*v[322:323]*/
	s_set_vgpr_msb 4                        ;  msbs: dst=0 src0=0 src1=1 src2=0
	v_mul_f64_e32 v[178:179], v[180:181], v[66:67] /*v[322:323]*/
	s_set_vgpr_msb 0                        ;  msbs: dst=0 src0=0 src1=0 src2=0
	v_cmp_ne_u32_e32 vcc_lo, 1, v0
	s_clause 0x1
	scratch_store_b128 off, v[140:143], off offset:32
	scratch_store_b128 off, v[120:123], off offset:128
	s_and_b32 vcc_lo, exec_lo, vcc_lo
	s_set_vgpr_msb 0x44                     ;  msbs: dst=1 src0=0 src1=1 src2=0
	v_fmac_f64_e32 v[56:57] /*v[312:313]*/, v[174:175], v[104:105] /*v[360:361]*/
	v_fmac_f64_e32 v[58:59] /*v[314:315]*/, v[172:173], v[104:105] /*v[360:361]*/
	s_set_vgpr_msb 0x45                     ;  msbs: dst=1 src0=1 src1=1 src2=0
	v_fmac_f64_e32 v[60:61] /*v[316:317]*/, v[104:105] /*v[360:361]*/, v[104:105] /*v[360:361]*/
	v_mul_f64_e32 v[104:105] /*v[360:361]*/, 0, v[102:103] /*v[358:359]*/
	s_set_vgpr_msb 0x44                     ;  msbs: dst=1 src0=0 src1=1 src2=0
	v_mul_f64_e64 v[108:109] /*v[364:365]*/, v[178:179], -v[4:5] /*v[260:261]*/
	s_set_vgpr_msb 0                        ;  msbs: dst=0 src0=0 src1=0 src2=0
	v_mul_f64_e32 v[180:181], s[6:7], v[178:179]
	s_set_vgpr_msb 4                        ;  msbs: dst=0 src0=0 src1=1 src2=0
	v_fmac_f64_e32 v[12:13], v[168:169], v[56:57] /*v[312:313]*/
	v_fmac_f64_e32 v[8:9], v[168:169], v[58:59] /*v[314:315]*/
	s_set_vgpr_msb 64                       ;  msbs: dst=1 src0=0 src1=0 src2=0
	v_mov_b64_e32 v[58:59] /*v[314:315]*/, v[14:15]
	s_set_vgpr_msb 4                        ;  msbs: dst=0 src0=0 src1=1 src2=0
	v_fmac_f64_e32 v[4:5], v[168:169], v[60:61] /*v[316:317]*/
	s_set_vgpr_msb 0x45                     ;  msbs: dst=1 src0=1 src1=1 src2=0
	v_mul_f64_e64 v[60:61] /*v[316:317]*/, v[24:25] /*v[280:281]*/, -v[4:5] /*v[260:261]*/
	s_set_vgpr_msb 0x54                     ;  msbs: dst=1 src0=0 src1=1 src2=1
	v_fma_f64 v[30:31] /*v[286:287]*/, v[178:179], -v[4:5] /*v[260:261]*/, v[104:105] /*v[360:361]*/
	v_fma_f64 v[106:107] /*v[362:363]*/, v[178:179], -s[6:7], v[104:105] /*v[360:361]*/
	s_set_vgpr_msb 0x51                     ;  msbs: dst=1 src0=1 src1=0 src2=1
	v_fma_f64 v[28:29] /*v[284:285]*/, v[4:5] /*v[260:261]*/, v[178:179], v[104:105] /*v[360:361]*/
	v_fmac_f64_e32 v[104:105] /*v[360:361]*/, s[6:7], v[178:179]
	s_set_vgpr_msb 5                        ;  msbs: dst=0 src0=1 src1=1 src2=0
	v_fmac_f64_e32 v[180:181], v[2:3] /*v[258:259]*/, v[102:103] /*v[358:359]*/
	s_set_vgpr_msb 64                       ;  msbs: dst=1 src0=0 src1=0 src2=0
	v_mov_b64_e32 v[56:57] /*v[312:313]*/, v[12:13]
	v_dual_mov_b32 v58 /*v314*/, v8 :: v_dual_mov_b32 v59 /*v315*/, v9
	scratch_store_b128 off, v[8:11], off offset:960
	s_set_vgpr_msb 0x51                     ;  msbs: dst=1 src0=1 src1=0 src2=1
	v_fma_f64 v[62:63] /*v[318:319]*/, v[26:27] /*v[282:283]*/, -s[4:5], v[60:61] /*v[316:317]*/
	v_mul_f64_e64 v[60:61] /*v[316:317]*/, v[22:23] /*v[278:279]*/, -s[6:7]
	s_set_vgpr_msb 0x44                     ;  msbs: dst=1 src0=0 src1=1 src2=0
	v_fmac_f64_e32 v[30:31] /*v[286:287]*/, v[176:177], v[118:119] /*v[374:375]*/
	scratch_store_b128 off, v[56:59] /*v[312:315]*/, off offset:1040
	s_wait_xcnt 0x0
	v_mul_f64_e32 v[58:59] /*v[314:315]*/, s[6:7], v[24:25] /*v[280:281]*/
	s_set_vgpr_msb 0x41                     ;  msbs: dst=1 src0=1 src1=0 src2=0
	v_mul_f64_e64 v[56:57] /*v[312:313]*/, v[24:25] /*v[280:281]*/, -s[6:7]
	s_set_vgpr_msb 0x44                     ;  msbs: dst=1 src0=0 src1=1 src2=0
	v_mul_f64_e32 v[24:25] /*v[280:281]*/, 0, v[22:23] /*v[278:279]*/
	v_fmac_f64_e32 v[28:29] /*v[284:285]*/, s[8:9], v[118:119] /*v[374:375]*/
	s_set_vgpr_msb 4                        ;  msbs: dst=0 src0=0 src1=1 src2=0
	v_fmac_f64_e32 v[180:181], 0, v[118:119] /*v[374:375]*/
	s_set_vgpr_msb 64                       ;  msbs: dst=1 src0=0 src1=0 src2=0
	scratch_store_b128 off, v[12:15], off offset:864
	v_fmac_f64_e32 v[60:61] /*v[316:317]*/, s[4:5], v[182:183]
	s_set_vgpr_msb 0x45                     ;  msbs: dst=1 src0=1 src1=1 src2=0
	v_fmac_f64_e32 v[58:59] /*v[314:315]*/, v[2:3] /*v[258:259]*/, v[26:27] /*v[282:283]*/
	v_fmac_f64_e32 v[56:57] /*v[312:313]*/, s[4:5], v[26:27] /*v[282:283]*/
	v_mul_f64_e32 v[26:27] /*v[282:283]*/, v[4:5] /*v[260:261]*/, v[22:23] /*v[278:279]*/
	s_set_vgpr_msb 0x51                     ;  msbs: dst=1 src0=1 src1=0 src2=1
	v_fma_f64 v[98:99] /*v[354:355]*/, v[2:3] /*v[258:259]*/, v[182:183], v[24:25] /*v[280:281]*/
	v_fma_f64 v[86:87] /*v[342:343]*/, s[4:5], v[182:183], v[24:25] /*v[280:281]*/
	s_set_vgpr_msb 0x54                     ;  msbs: dst=1 src0=0 src1=1 src2=1
	v_fma_f64 v[100:101] /*v[356:357]*/, -v[182:183], v[2:3] /*v[258:259]*/, v[24:25] /*v[280:281]*/
	v_fma_f64 v[80:81] /*v[336:337]*/, -v[182:183], s[4:5], v[24:25] /*v[280:281]*/
	s_set_vgpr_msb 0x41                     ;  msbs: dst=1 src0=1 src1=0 src2=0
	v_mul_f64_e32 v[22:23] /*v[278:279]*/, v[4:5] /*v[260:261]*/, v[178:179]
	s_set_vgpr_msb 0x54                     ;  msbs: dst=1 src0=0 src1=1 src2=1
	v_fma_f64 v[76:77] /*v[332:333]*/, v[182:183], -v[2:3] /*v[258:259]*/, v[26:27] /*v[282:283]*/
	s_set_vgpr_msb 0                        ;  msbs: dst=0 src0=0 src1=0 src2=0
	v_mul_f64_e32 v[182:183], 0, v[178:179]
	v_mul_f64_e64 v[178:179], v[178:179], -s[6:7]
	s_set_vgpr_msb 0x55                     ;  msbs: dst=1 src0=1 src1=1 src2=1
	s_delay_alu instid0(VALU_DEP_4) | instskip(SKIP_1) | instid1(VALU_DEP_3)
	v_fma_f64 v[22:23] /*v[278:279]*/, v[102:103] /*v[358:359]*/, -v[2:3] /*v[258:259]*/, v[22:23] /*v[278:279]*/
	s_set_vgpr_msb 0x45                     ;  msbs: dst=1 src0=1 src1=1 src2=0
	v_fma_f64 v[110:111] /*v[366:367]*/, v[2:3] /*v[258:259]*/, v[102:103] /*v[358:359]*/, v[182:183]
	v_fma_f64 v[26:27] /*v[282:283]*/, s[4:5], v[102:103] /*v[358:359]*/, v[182:183]
	v_fma_f64 v[114:115] /*v[370:371]*/, -v[102:103] /*v[358:359]*/, v[2:3] /*v[258:259]*/, v[182:183]
	v_fma_f64 v[24:25] /*v[280:281]*/, -v[102:103] /*v[358:359]*/, s[4:5], v[182:183]
	s_set_vgpr_msb 17                       ;  msbs: dst=0 src0=1 src1=0 src2=1
	v_fma_f64 v[182:183], v[102:103] /*v[358:359]*/, -s[4:5], v[108:109] /*v[364:365]*/
	s_set_vgpr_msb 4                        ;  msbs: dst=0 src0=0 src1=1 src2=0
	v_fmac_f64_e32 v[178:179], s[4:5], v[102:103] /*v[358:359]*/
	s_set_vgpr_msb 0x45                     ;  msbs: dst=1 src0=1 src1=1 src2=0
	v_mul_f64_e32 v[102:103] /*v[358:359]*/, v[10:11] /*v[266:267]*/, v[66:67] /*v[322:323]*/
	v_mul_f64_e32 v[108:109] /*v[364:365]*/, v[12:13] /*v[268:269]*/, v[66:67] /*v[322:323]*/
	v_fmac_f64_e32 v[22:23] /*v[278:279]*/, 0, v[118:119] /*v[374:375]*/
	s_set_vgpr_msb 0x51                     ;  msbs: dst=1 src0=1 src1=0 src2=1
	v_fma_f64 v[66:67] /*v[322:323]*/, v[118:119] /*v[374:375]*/, -v[176:177], v[110:111] /*v[366:367]*/
	s_set_vgpr_msb 0x44                     ;  msbs: dst=1 src0=0 src1=1 src2=0
	v_fmac_f64_e32 v[26:27] /*v[282:283]*/, v[176:177], v[118:119] /*v[374:375]*/
	v_fmac_f64_e32 v[24:25] /*v[280:281]*/, s[8:9], v[118:119] /*v[374:375]*/
	s_set_vgpr_msb 4                        ;  msbs: dst=0 src0=0 src1=1 src2=0
	v_fmac_f64_e32 v[182:183], 0, v[118:119] /*v[374:375]*/
	v_fmac_f64_e32 v[178:179], 0, v[118:119] /*v[374:375]*/
	s_set_vgpr_msb 0x51                     ;  msbs: dst=1 src0=1 src1=0 src2=1
	v_fma_f64 v[136:137] /*v[392:393]*/, v[102:103] /*v[358:359]*/, -v[176:177], v[82:83] /*v[338:339]*/
	s_set_vgpr_msb 0x45                     ;  msbs: dst=1 src0=1 src1=1 src2=0
	v_mul_f64_e32 v[82:83] /*v[338:339]*/, v[36:37] /*v[292:293]*/, v[36:37] /*v[292:293]*/
	v_mul_f64_e32 v[36:37] /*v[292:293]*/, v[36:37] /*v[292:293]*/, v[32:33] /*v[288:289]*/
	v_mul_f64_e32 v[32:33] /*v[288:289]*/, v[32:33] /*v[288:289]*/, v[32:33] /*v[288:289]*/
	s_set_vgpr_msb 0x44                     ;  msbs: dst=1 src0=0 src1=1 src2=0
	v_fmac_f64_e32 v[96:97] /*v[352:353]*/, v[176:177], v[108:109] /*v[364:365]*/
	s_set_vgpr_msb 0x51                     ;  msbs: dst=1 src0=1 src1=0 src2=1
	v_fma_f64 v[126:127] /*v[382:383]*/, -v[108:109] /*v[364:365]*/, v[176:177], v[94:95] /*v[350:351]*/
	v_fma_f64 v[138:139] /*v[394:395]*/, v[108:109] /*v[364:365]*/, -v[176:177], v[98:99] /*v[354:355]*/
	s_set_vgpr_msb 0x44                     ;  msbs: dst=1 src0=0 src1=1 src2=0
	v_fmac_f64_e32 v[86:87] /*v[342:343]*/, v[176:177], v[108:109] /*v[364:365]*/
	v_fmac_f64_e32 v[146:147] /*v[402:403]*/, s[8:9], v[108:109] /*v[364:365]*/
	s_set_vgpr_msb 0x51                     ;  msbs: dst=1 src0=1 src1=0 src2=1
	v_fma_f64 v[164:165] /*v[420:421]*/, -v[108:109] /*v[364:365]*/, s[8:9], v[90:91] /*v[346:347]*/
	v_fma_f64 v[116:117] /*v[372:373]*/, v[108:109] /*v[364:365]*/, -s[8:9], v[100:101] /*v[356:357]*/
	s_set_vgpr_msb 0x44                     ;  msbs: dst=1 src0=0 src1=1 src2=0
	v_fmac_f64_e32 v[80:81] /*v[336:337]*/, s[8:9], v[108:109] /*v[364:365]*/
	v_fmac_f64_e32 v[76:77] /*v[332:333]*/, 0, v[108:109] /*v[364:365]*/
	;; [unrolled: 1-line block ×6, first 2 shown]
	s_set_vgpr_msb 0x51                     ;  msbs: dst=1 src0=1 src1=0 src2=1
	v_fma_f64 v[124:125] /*v[380:381]*/, -v[102:103] /*v[358:359]*/, v[176:177], v[72:73] /*v[328:329]*/
	v_fma_f64 v[72:73] /*v[328:329]*/, -v[118:119] /*v[374:375]*/, v[176:177], v[106:107] /*v[362:363]*/
	s_set_vgpr_msb 0x44                     ;  msbs: dst=1 src0=0 src1=1 src2=0
	v_fmac_f64_e32 v[84:85] /*v[340:341]*/, v[176:177], v[102:103] /*v[358:359]*/
	v_fmac_f64_e32 v[134:135] /*v[390:391]*/, s[8:9], v[102:103] /*v[358:359]*/
	s_set_vgpr_msb 0x51                     ;  msbs: dst=1 src0=1 src1=0 src2=1
	v_fma_f64 v[160:161] /*v[416:417]*/, -v[102:103] /*v[358:359]*/, s[8:9], v[74:75] /*v[330:331]*/
	v_fma_f64 v[112:113] /*v[368:369]*/, v[102:103] /*v[358:359]*/, -s[8:9], v[88:89] /*v[344:345]*/
	s_set_vgpr_msb 0x44                     ;  msbs: dst=1 src0=0 src1=1 src2=0
	v_fmac_f64_e32 v[78:79] /*v[334:335]*/, s[8:9], v[102:103] /*v[358:359]*/
	v_fmac_f64_e32 v[68:69] /*v[324:325]*/, 0, v[102:103] /*v[358:359]*/
	;; [unrolled: 1-line block ×5, first 2 shown]
	s_set_vgpr_msb 0x51                     ;  msbs: dst=1 src0=1 src1=0 src2=1
	v_fma_f64 v[74:75] /*v[330:331]*/, -v[118:119] /*v[374:375]*/, s[8:9], v[104:105] /*v[360:361]*/
	s_set_vgpr_msb 17                       ;  msbs: dst=0 src0=1 src1=0 src2=1
	v_fma_f64 v[176:177], v[118:119] /*v[374:375]*/, -s[8:9], v[114:115] /*v[370:371]*/
	s_mov_b64 s[8:9], 0x3fe93cd3a2c8198e
	s_set_vgpr_msb 0x45                     ;  msbs: dst=1 src0=1 src1=1 src2=0
	v_fmac_f64_e32 v[82:83] /*v[338:339]*/, v[38:39] /*v[294:295]*/, v[38:39] /*v[294:295]*/
	v_fmac_f64_e32 v[36:37] /*v[292:293]*/, v[38:39] /*v[294:295]*/, v[34:35] /*v[290:291]*/
	v_mul_f64_e32 v[38:39] /*v[294:295]*/, v[48:49] /*v[304:305]*/, v[42:43] /*v[298:299]*/
	v_mul_f64_e32 v[42:43] /*v[298:299]*/, v[42:43] /*v[298:299]*/, v[42:43] /*v[298:299]*/
	v_fmac_f64_e32 v[32:33] /*v[288:289]*/, v[34:35] /*v[290:291]*/, v[34:35] /*v[290:291]*/
	v_mul_f64_e32 v[34:35] /*v[290:291]*/, v[48:49] /*v[304:305]*/, v[48:49] /*v[304:305]*/
	v_mul_f64_e32 v[48:49] /*v[304:305]*/, v[52:53] /*v[308:309]*/, v[46:47] /*v[302:303]*/
	;; [unrolled: 1-line block ×29, first 2 shown]
	v_fmac_f64_e32 v[38:39] /*v[294:295]*/, v[50:51] /*v[306:307]*/, v[40:41] /*v[296:297]*/
	v_fmac_f64_e32 v[42:43] /*v[298:299]*/, v[40:41] /*v[296:297]*/, v[40:41] /*v[296:297]*/
	v_mul_f64_e32 v[40:41] /*v[296:297]*/, v[52:53] /*v[308:309]*/, v[52:53] /*v[308:309]*/
	v_fmac_f64_e32 v[34:35] /*v[290:291]*/, v[50:51] /*v[306:307]*/, v[50:51] /*v[306:307]*/
	v_fmac_f64_e32 v[48:49] /*v[304:305]*/, v[54:55] /*v[310:311]*/, v[44:45] /*v[300:301]*/
	;; [unrolled: 1-line block ×3, first 2 shown]
	v_mul_f64_e32 v[44:45] /*v[300:301]*/, v[96:97] /*v[352:353]*/, v[96:97] /*v[352:353]*/
	v_mul_f64_e32 v[50:51] /*v[306:307]*/, v[96:97] /*v[352:353]*/, v[126:127] /*v[382:383]*/
	;; [unrolled: 1-line block ×3, first 2 shown]
	v_fmac_f64_e32 v[88:89] /*v[344:345]*/, v[92:93] /*v[348:349]*/, v[136:137] /*v[392:393]*/
	v_fmac_f64_e32 v[90:91] /*v[346:347]*/, v[92:93] /*v[348:349]*/, v[84:85] /*v[340:341]*/
	;; [unrolled: 1-line block ×26, first 2 shown]
	v_mul_f64_e32 v[54:55] /*v[310:311]*/, v[96:97] /*v[352:353]*/, v[164:165] /*v[420:421]*/
	v_mul_f64_e32 v[96:97] /*v[352:353]*/, v[126:127] /*v[382:383]*/, v[146:147] /*v[402:403]*/
	;; [unrolled: 1-line block ×3, first 2 shown]
	v_fmac_f64_e32 v[44:45] /*v[300:301]*/, v[92:93] /*v[348:349]*/, v[92:93] /*v[348:349]*/
	v_fmac_f64_e32 v[50:51] /*v[306:307]*/, v[92:93] /*v[348:349]*/, v[124:125] /*v[380:381]*/
	;; [unrolled: 1-line block ×3, first 2 shown]
	v_mul_f64_e32 v[170:171] /*v[426:427]*/, v[164:165] /*v[420:421]*/, v[80:81] /*v[336:337]*/
	v_mul_f64_e32 v[162:163] /*v[418:419]*/, v[164:165] /*v[420:421]*/, v[76:77] /*v[332:333]*/
	;; [unrolled: 1-line block ×4, first 2 shown]
	v_fmac_f64_e32 v[166:167] /*v[422:423]*/, v[160:161] /*v[416:417]*/, v[84:85] /*v[340:341]*/
	v_mul_f64_e32 v[174:175] /*v[430:431]*/, v[138:139] /*v[394:395]*/, v[86:87] /*v[342:343]*/
	v_mul_f64_e32 v[176:177] /*v[432:433]*/, v[138:139] /*v[394:395]*/, v[116:117] /*v[372:373]*/
	;; [unrolled: 1-line block ×21, first 2 shown]
	v_fmac_f64_e32 v[54:55] /*v[310:311]*/, v[92:93] /*v[348:349]*/, v[160:161] /*v[416:417]*/
	v_mul_f64_e32 v[92:93] /*v[348:349]*/, v[126:127] /*v[382:383]*/, v[126:127] /*v[382:383]*/
	v_fmac_f64_e32 v[96:97] /*v[352:353]*/, v[124:125] /*v[380:381]*/, v[134:135] /*v[390:391]*/
	v_mul_f64_e32 v[126:127] /*v[382:383]*/, v[146:147] /*v[402:403]*/, v[164:165] /*v[420:421]*/
	v_fmac_f64_e32 v[158:159] /*v[414:415]*/, v[160:161] /*v[416:417]*/, v[112:113] /*v[368:369]*/
	s_set_vgpr_msb 64                       ;  msbs: dst=1 src0=0 src1=0 src2=0
	v_fmac_f64_e32 v[38:39] /*v[294:295]*/, v[170:171], v[164:165]
	s_set_vgpr_msb 0x45                     ;  msbs: dst=1 src0=1 src1=1 src2=0
	v_fmac_f64_e32 v[170:171] /*v[426:427]*/, v[160:161] /*v[416:417]*/, v[78:79] /*v[334:335]*/
	v_fmac_f64_e32 v[162:163] /*v[418:419]*/, v[160:161] /*v[416:417]*/, v[68:69] /*v[324:325]*/
	;; [unrolled: 1-line block ×4, first 2 shown]
	s_set_vgpr_msb 64                       ;  msbs: dst=1 src0=0 src1=0 src2=0
	v_fmac_f64_e32 v[36:37] /*v[292:293]*/, v[156:157], v[148:149]
	s_set_vgpr_msb 0x45                     ;  msbs: dst=1 src0=1 src1=1 src2=0
	v_fmac_f64_e32 v[174:175] /*v[430:431]*/, v[136:137] /*v[392:393]*/, v[84:85] /*v[340:341]*/
	v_fmac_f64_e32 v[176:177] /*v[432:433]*/, v[136:137] /*v[392:393]*/, v[112:113] /*v[368:369]*/
	;; [unrolled: 1-line block ×21, first 2 shown]
	s_set_vgpr_msb 64                       ;  msbs: dst=1 src0=0 src1=0 src2=0
	v_fmac_f64_e32 v[48:49] /*v[304:305]*/, v[174:175], v[172:173]
	s_set_vgpr_msb 0x45                     ;  msbs: dst=1 src0=1 src1=1 src2=0
	v_fmac_f64_e32 v[92:93] /*v[348:349]*/, v[124:125] /*v[380:381]*/, v[124:125] /*v[380:381]*/
	v_mul_f64_e32 v[124:125] /*v[380:381]*/, v[146:147] /*v[402:403]*/, v[146:147] /*v[402:403]*/
	v_fmac_f64_e32 v[126:127] /*v[382:383]*/, v[134:135] /*v[390:391]*/, v[160:161] /*v[416:417]*/
	v_mul_f64_e32 v[146:147] /*v[402:403]*/, v[164:165] /*v[420:421]*/, v[138:139] /*v[394:395]*/
	s_set_vgpr_msb 64                       ;  msbs: dst=1 src0=0 src1=0 src2=0
	v_fmac_f64_e32 v[82:83] /*v[338:339]*/, v[156:157], v[156:157]
	v_fmac_f64_e32 v[32:33] /*v[288:289]*/, v[148:149], v[148:149]
	;; [unrolled: 1-line block ×6, first 2 shown]
	s_set_vgpr_msb 0x45                     ;  msbs: dst=1 src0=1 src1=1 src2=0
	v_fmac_f64_e32 v[98:99] /*v[354:355]*/, v[30:31] /*v[286:287]*/, v[24:25] /*v[280:281]*/
	s_set_vgpr_msb 0x41                     ;  msbs: dst=1 src0=1 src1=0 src2=0
	v_fmac_f64_e32 v[104:105] /*v[360:361]*/, v[30:31] /*v[286:287]*/, v[182:183]
	v_fmac_f64_e32 v[108:109] /*v[364:365]*/, v[30:31] /*v[286:287]*/, v[178:179]
	s_set_vgpr_msb 0x45                     ;  msbs: dst=1 src0=1 src1=1 src2=0
	v_fmac_f64_e32 v[128:129] /*v[384:385]*/, v[72:73] /*v[328:329]*/, v[24:25] /*v[280:281]*/
	s_set_vgpr_msb 0x41                     ;  msbs: dst=1 src0=1 src1=0 src2=0
	v_fmac_f64_e32 v[130:131] /*v[386:387]*/, v[72:73] /*v[328:329]*/, v[182:183]
	v_fmac_f64_e32 v[132:133] /*v[388:389]*/, v[72:73] /*v[328:329]*/, v[178:179]
	s_set_vgpr_msb 0x45                     ;  msbs: dst=1 src0=1 src1=1 src2=0
	v_fmac_f64_e32 v[90:91] /*v[346:347]*/, v[30:31] /*v[286:287]*/, v[26:27] /*v[282:283]*/
	v_fmac_f64_e32 v[120:121] /*v[376:377]*/, v[72:73] /*v[328:329]*/, v[26:27] /*v[282:283]*/
	;; [unrolled: 1-line block ×8, first 2 shown]
	s_set_vgpr_msb 0x41                     ;  msbs: dst=1 src0=1 src1=0 src2=0
	v_fmac_f64_e32 v[152:153] /*v[408:409]*/, v[28:29] /*v[284:285]*/, v[182:183]
	v_fmac_f64_e32 v[156:157] /*v[412:413]*/, v[28:29] /*v[284:285]*/, v[178:179]
	;; [unrolled: 1-line block ×8, first 2 shown]
	s_set_vgpr_msb 4                        ;  msbs: dst=0 src0=0 src1=1 src2=0
	v_fmac_f64_e32 v[66:67], v[168:169], v[38:39] /*v[294:295]*/
	s_set_vgpr_msb 0x45                     ;  msbs: dst=1 src0=1 src1=1 src2=0
	v_fmac_f64_e32 v[124:125] /*v[380:381]*/, v[134:135] /*v[390:391]*/, v[134:135] /*v[390:391]*/
	v_mul_f64_e32 v[134:135] /*v[390:391]*/, v[164:165] /*v[420:421]*/, v[164:165] /*v[420:421]*/
	v_mul_f64_e32 v[164:165] /*v[420:421]*/, v[164:165] /*v[420:421]*/, v[60:61] /*v[316:317]*/
	v_fmac_f64_e32 v[146:147] /*v[402:403]*/, v[160:161] /*v[416:417]*/, v[136:137] /*v[392:393]*/
	v_fmac_f64_e32 v[88:89] /*v[344:345]*/, v[30:31] /*v[286:287]*/, v[66:67] /*v[322:323]*/
	s_set_vgpr_msb 0x41                     ;  msbs: dst=1 src0=1 src1=0 src2=0
	v_fmac_f64_e32 v[94:95] /*v[350:351]*/, v[30:31] /*v[286:287]*/, v[176:177]
	s_set_vgpr_msb 0x45                     ;  msbs: dst=1 src0=1 src1=1 src2=0
	v_fmac_f64_e32 v[110:111] /*v[366:367]*/, v[72:73] /*v[328:329]*/, v[66:67] /*v[322:323]*/
	s_set_vgpr_msb 0x41                     ;  msbs: dst=1 src0=1 src1=0 src2=0
	v_fmac_f64_e32 v[114:115] /*v[370:371]*/, v[72:73] /*v[328:329]*/, v[176:177]
	s_set_vgpr_msb 64                       ;  msbs: dst=1 src0=0 src1=0 src2=0
	v_fmac_f64_e32 v[200:201] /*v[456:457]*/, v[176:177], v[182:183]
	s_set_vgpr_msb 0x41                     ;  msbs: dst=1 src0=1 src1=0 src2=0
	v_fmac_f64_e32 v[106:107] /*v[362:363]*/, v[30:31] /*v[286:287]*/, v[180:181]
	v_fmac_f64_e32 v[122:123] /*v[378:379]*/, v[72:73] /*v[328:329]*/, v[180:181]
	s_set_vgpr_msb 0x45                     ;  msbs: dst=1 src0=1 src1=1 src2=0
	v_fmac_f64_e32 v[140:141] /*v[396:397]*/, v[28:29] /*v[284:285]*/, v[66:67] /*v[322:323]*/
	s_set_vgpr_msb 4                        ;  msbs: dst=0 src0=0 src1=1 src2=0
	v_fmac_f64_e32 v[146:147], v[168:169], v[36:37] /*v[292:293]*/
	v_fmac_f64_e32 v[18:19], v[168:169], v[48:49] /*v[304:305]*/
	s_set_vgpr_msb 0x41                     ;  msbs: dst=1 src0=1 src1=0 src2=0
	v_fmac_f64_e32 v[144:145] /*v[400:401]*/, v[28:29] /*v[284:285]*/, v[176:177]
	v_fmac_f64_e32 v[158:159] /*v[414:415]*/, v[74:75] /*v[330:331]*/, v[176:177]
	s_set_vgpr_msb 0x45                     ;  msbs: dst=1 src0=1 src1=1 src2=0
	v_fmac_f64_e32 v[44:45] /*v[300:301]*/, v[30:31] /*v[286:287]*/, v[30:31] /*v[286:287]*/
	v_fmac_f64_e32 v[50:51] /*v[306:307]*/, v[30:31] /*v[286:287]*/, v[72:73] /*v[328:329]*/
	;; [unrolled: 1-line block ×9, first 2 shown]
	s_set_vgpr_msb 0x41                     ;  msbs: dst=1 src0=1 src1=0 src2=0
	v_fmac_f64_e32 v[154:155] /*v[410:411]*/, v[28:29] /*v[284:285]*/, v[180:181]
	s_set_vgpr_msb 0x45                     ;  msbs: dst=1 src0=1 src1=1 src2=0
	v_fmac_f64_e32 v[162:163] /*v[418:419]*/, v[74:75] /*v[330:331]*/, v[22:23] /*v[278:279]*/
	s_set_vgpr_msb 0x41                     ;  msbs: dst=1 src0=1 src1=0 src2=0
	v_fmac_f64_e32 v[168:169] /*v[424:425]*/, v[74:75] /*v[330:331]*/, v[180:181]
	s_set_vgpr_msb 0x45                     ;  msbs: dst=1 src0=1 src1=1 src2=0
	v_fmac_f64_e32 v[174:175] /*v[430:431]*/, v[66:67] /*v[322:323]*/, v[26:27] /*v[282:283]*/
	;; [unrolled: 4-line block ×3, first 2 shown]
	v_fmac_f64_e32 v[180:181] /*v[436:437]*/, v[66:67] /*v[322:323]*/, v[22:23] /*v[278:279]*/
	v_fmac_f64_e32 v[124:125] /*v[380:381]*/, v[28:29] /*v[284:285]*/, v[28:29] /*v[284:285]*/
	;; [unrolled: 1-line block ×4, first 2 shown]
	v_mul_f64_e32 v[160:161] /*v[416:417]*/, v[138:139] /*v[394:395]*/, v[138:139] /*v[394:395]*/
	v_mul_f64_e32 v[138:139] /*v[394:395]*/, v[86:87] /*v[342:343]*/, v[116:117] /*v[372:373]*/
	v_fmac_f64_e32 v[146:147] /*v[402:403]*/, v[74:75] /*v[330:331]*/, v[66:67] /*v[322:323]*/
	s_set_vgpr_msb 0x41                     ;  msbs: dst=1 src0=1 src1=0 src2=0
	v_fmac_f64_e32 v[184:185] /*v[440:441]*/, v[66:67] /*v[322:323]*/, v[180:181]
	s_set_vgpr_msb 0x45                     ;  msbs: dst=1 src0=1 src1=1 src2=0
	v_fmac_f64_e32 v[186:187] /*v[442:443]*/, v[26:27] /*v[282:283]*/, v[24:25] /*v[280:281]*/
	v_fmac_f64_e32 v[190:191] /*v[446:447]*/, v[26:27] /*v[282:283]*/, v[22:23] /*v[278:279]*/
	s_set_vgpr_msb 0x41                     ;  msbs: dst=1 src0=1 src1=0 src2=0
	v_fmac_f64_e32 v[192:193] /*v[448:449]*/, v[26:27] /*v[282:283]*/, v[180:181]
	s_set_vgpr_msb 0x44                     ;  msbs: dst=1 src0=0 src1=1 src2=0
	v_fmac_f64_e32 v[198:199] /*v[454:455]*/, v[176:177], v[22:23] /*v[278:279]*/
	s_set_vgpr_msb 64                       ;  msbs: dst=1 src0=0 src1=0 src2=0
	v_fmac_f64_e32 v[202:203] /*v[458:459]*/, v[176:177], v[180:181]
	s_set_vgpr_msb 0x45                     ;  msbs: dst=1 src0=1 src1=1 src2=0
	v_fmac_f64_e32 v[204:205] /*v[460:461]*/, v[24:25] /*v[280:281]*/, v[22:23] /*v[278:279]*/
	s_set_vgpr_msb 0x41                     ;  msbs: dst=1 src0=1 src1=0 src2=0
	v_fmac_f64_e32 v[208:209] /*v[464:465]*/, v[24:25] /*v[280:281]*/, v[180:181]
	v_fmac_f64_e32 v[210:211] /*v[466:467]*/, v[22:23] /*v[278:279]*/, v[182:183]
	v_fmac_f64_e32 v[212:213] /*v[468:469]*/, v[22:23] /*v[278:279]*/, v[180:181]
	s_set_vgpr_msb 64                       ;  msbs: dst=1 src0=0 src1=0 src2=0
	v_fmac_f64_e32 v[214:215] /*v[470:471]*/, v[182:183], v[180:181]
	s_set_vgpr_msb 4                        ;  msbs: dst=0 src0=0 src1=1 src2=0
	v_fmac_f64_e32 v[144:145], v[168:169], v[82:83] /*v[338:339]*/
	v_fmac_f64_e32 v[166:167], v[168:169], v[32:33] /*v[288:289]*/
	;; [unrolled: 1-line block ×15, first 2 shown]
	s_set_vgpr_msb 0                        ;  msbs: dst=0 src0=0 src1=0 src2=0
	scratch_store_b128 off, v[68:71], off offset:384
	s_set_vgpr_msb 0x45                     ;  msbs: dst=1 src0=1 src1=1 src2=0
	v_fmac_f64_e32 v[134:135] /*v[390:391]*/, v[74:75] /*v[330:331]*/, v[74:75] /*v[330:331]*/
	s_set_vgpr_msb 0x41                     ;  msbs: dst=1 src0=1 src1=0 src2=0
	v_fmac_f64_e32 v[164:165] /*v[420:421]*/, v[74:75] /*v[330:331]*/, v[178:179]
	s_set_vgpr_msb 0x45                     ;  msbs: dst=1 src0=1 src1=1 src2=0
	v_fmac_f64_e32 v[160:161] /*v[416:417]*/, v[136:137] /*v[392:393]*/, v[136:137] /*v[392:393]*/
	v_mul_f64_e32 v[136:137] /*v[392:393]*/, v[86:87] /*v[342:343]*/, v[86:87] /*v[342:343]*/
	v_fmac_f64_e32 v[138:139] /*v[394:395]*/, v[84:85] /*v[340:341]*/, v[112:113] /*v[368:369]*/
	v_mul_f64_e32 v[86:87] /*v[342:343]*/, v[116:117] /*v[372:373]*/, v[80:81] /*v[336:337]*/
	s_set_vgpr_msb 4                        ;  msbs: dst=0 src0=0 src1=1 src2=0
	v_fmac_f64_e32 v[98:99], v[168:169], v[142:143] /*v[398:399]*/
	v_fmac_f64_e32 v[82:83], v[168:169], v[166:167] /*v[422:423]*/
	;; [unrolled: 1-line block ×10, first 2 shown]
	v_dual_mov_b32 v156, v66 :: v_dual_mov_b32 v157, v67
	s_set_vgpr_msb 0                        ;  msbs: dst=0 src0=0 src1=0 src2=0
	scratch_store_b128 off, v[52:55], off offset:480
	s_wait_xcnt 0x0
	s_set_vgpr_msb 4                        ;  msbs: dst=0 src0=0 src1=1 src2=0
	v_fmac_f64_e32 v[54:55], v[168:169], v[188:189] /*v[444:445]*/
	v_fmac_f64_e32 v[42:43], v[168:169], v[196:197] /*v[452:453]*/
	v_fmac_f64_e32 v[26:27], v[168:169], v[206:207] /*v[462:463]*/
	v_fmac_f64_e32 v[136:137], v[168:169], v[88:89] /*v[344:345]*/
	v_fmac_f64_e32 v[132:133], v[168:169], v[94:95] /*v[350:351]*/
	v_fmac_f64_e32 v[116:117], v[168:169], v[110:111] /*v[366:367]*/
	v_fmac_f64_e32 v[112:113], v[168:169], v[114:115] /*v[370:371]*/
	v_fmac_f64_e32 v[34:35], v[168:169], v[200:201] /*v[456:457]*/
	v_dual_mov_b32 v164, v146 :: v_dual_mov_b32 v165, v147
	v_fmac_f64_e32 v[124:125], v[168:169], v[106:107] /*v[362:363]*/
	v_fmac_f64_e32 v[96:97], v[168:169], v[140:141] /*v[396:397]*/
	v_dual_mov_b32 v148, v18 :: v_dual_mov_b32 v149, v19
	v_fmac_f64_e32 v[70:71], v[168:169], v[164:165] /*v[420:421]*/
	s_set_vgpr_msb 0x45                     ;  msbs: dst=1 src0=1 src1=1 src2=0
	v_fmac_f64_e32 v[160:161] /*v[416:417]*/, v[66:67] /*v[322:323]*/, v[66:67] /*v[322:323]*/
	v_fmac_f64_e32 v[136:137] /*v[392:393]*/, v[84:85] /*v[340:341]*/, v[84:85] /*v[340:341]*/
	v_mul_f64_e32 v[84:85] /*v[340:341]*/, v[116:117] /*v[372:373]*/, v[116:117] /*v[372:373]*/
	v_mul_f64_e32 v[116:117] /*v[372:373]*/, v[116:117] /*v[372:373]*/, v[60:61] /*v[316:317]*/
	v_fmac_f64_e32 v[86:87] /*v[342:343]*/, v[112:113] /*v[368:369]*/, v[78:79] /*v[334:335]*/
	s_set_vgpr_msb 0x41                     ;  msbs: dst=1 src0=1 src1=0 src2=0
	v_fmac_f64_e32 v[138:139] /*v[394:395]*/, v[26:27] /*v[282:283]*/, v[176:177]
	s_set_vgpr_msb 4                        ;  msbs: dst=0 src0=0 src1=1 src2=0
	v_fmac_f64_e32 v[104:105], v[168:169], v[122:123] /*v[378:379]*/
	v_fmac_f64_e32 v[92:93], v[168:169], v[144:145] /*v[400:401]*/
	;; [unrolled: 1-line block ×4, first 2 shown]
	s_set_vgpr_msb 0                        ;  msbs: dst=0 src0=0 src1=0 src2=0
	scratch_store_b128 off, v[144:147], off offset:16
	s_wait_xcnt 0x0
	s_set_vgpr_msb 4                        ;  msbs: dst=0 src0=0 src1=1 src2=0
	v_fmac_f64_e32 v[144:145], v[168:169], v[44:45] /*v[300:301]*/
	v_fmac_f64_e32 v[146:147], v[168:169], v[50:51] /*v[306:307]*/
	;; [unrolled: 1-line block ×6, first 2 shown]
	s_set_vgpr_msb 0                        ;  msbs: dst=0 src0=0 src1=0 src2=0
	scratch_store_b128 off, v[64:67], off offset:432
	s_wait_xcnt 0x0
	s_set_vgpr_msb 4                        ;  msbs: dst=0 src0=0 src1=1 src2=0
	v_fmac_f64_e32 v[66:67], v[168:169], v[174:175] /*v[430:431]*/
	v_fmac_f64_e32 v[60:61], v[168:169], v[176:177] /*v[432:433]*/
	;; [unrolled: 1-line block ×7, first 2 shown]
	s_set_vgpr_msb 0                        ;  msbs: dst=0 src0=0 src1=0 src2=0
	scratch_store_b128 off, v[16:19], off offset:848
	s_wait_xcnt 0x0
	s_set_vgpr_msb 4                        ;  msbs: dst=0 src0=0 src1=1 src2=0
	v_fmac_f64_e32 v[18:19], v[168:169], v[210:211] /*v[466:467]*/
	v_fmac_f64_e32 v[12:13], v[168:169], v[212:213] /*v[468:469]*/
	;; [unrolled: 1-line block ×7, first 2 shown]
	s_set_vgpr_msb 0x45                     ;  msbs: dst=1 src0=1 src1=1 src2=0
	v_fmac_f64_e32 v[136:137] /*v[392:393]*/, v[26:27] /*v[282:283]*/, v[26:27] /*v[282:283]*/
	v_fmac_f64_e32 v[84:85] /*v[340:341]*/, v[112:113] /*v[368:369]*/, v[112:113] /*v[368:369]*/
	;; [unrolled: 1-line block ×3, first 2 shown]
	v_mul_f64_e32 v[112:113] /*v[368:369]*/, v[80:81] /*v[336:337]*/, v[80:81] /*v[336:337]*/
	v_mul_f64_e32 v[80:81] /*v[336:337]*/, v[80:81] /*v[336:337]*/, v[60:61] /*v[316:317]*/
	s_set_vgpr_msb 0x44                     ;  msbs: dst=1 src0=0 src1=1 src2=0
	v_fmac_f64_e32 v[86:87] /*v[342:343]*/, v[176:177], v[24:25] /*v[280:281]*/
	s_set_vgpr_msb 4                        ;  msbs: dst=0 src0=0 src1=1 src2=0
	v_fmac_f64_e32 v[24:25], v[168:169], v[204:205] /*v[460:461]*/
	v_fmac_f64_e32 v[20:21], v[168:169], v[208:209] /*v[464:465]*/
	s_set_vgpr_msb 0                        ;  msbs: dst=0 src0=0 src1=0 src2=0
	scratch_store_b128 off, v[164:167], off offset:112
	s_wait_xcnt 0x0
	s_set_vgpr_msb 4                        ;  msbs: dst=0 src0=0 src1=1 src2=0
	v_fmac_f64_e32 v[166:167], v[168:169], v[92:93] /*v[348:349]*/
	v_fmac_f64_e32 v[120:121], v[168:169], v[96:97] /*v[352:353]*/
	;; [unrolled: 1-line block ×4, first 2 shown]
	s_set_vgpr_msb 0                        ;  msbs: dst=0 src0=0 src1=0 src2=0
	scratch_store_b128 off, v[156:159], off offset:528
	s_set_vgpr_msb 4                        ;  msbs: dst=0 src0=0 src1=1 src2=0
	v_fmac_f64_e32 v[48:49], v[168:169], v[138:139] /*v[394:395]*/
	v_fmac_f64_e32 v[50:51], v[168:169], v[186:187] /*v[442:443]*/
	s_set_vgpr_msb 0                        ;  msbs: dst=0 src0=0 src1=0 src2=0
	scratch_store_b128 off, v[148:151], off offset:944
	s_set_vgpr_msb 4                        ;  msbs: dst=0 src0=0 src1=1 src2=0
	v_fmac_f64_e32 v[8:9], v[168:169], v[214:215] /*v[470:471]*/
	s_set_vgpr_msb 0                        ;  msbs: dst=0 src0=0 src1=0 src2=0
	s_clause 0x2
	scratch_store_b128 off, v[100:103], off offset:224
	scratch_store_b128 off, v[36:39], off offset:640
	;; [unrolled: 1-line block ×3, first 2 shown]
	s_wait_xcnt 0x2
	s_set_vgpr_msb 4                        ;  msbs: dst=0 src0=0 src1=1 src2=0
	v_fmac_f64_e32 v[100:101], v[168:169], v[124:125] /*v[380:381]*/
	v_fmac_f64_e32 v[102:103], v[168:169], v[126:127] /*v[382:383]*/
	v_dual_mov_b32 v171, v115 :: v_dual_mov_b32 v172, v130
	v_dual_mov_b32 v173, v131 :: v_dual_mov_b32 v174, v110
	v_mov_b32_e32 v175, v111
	s_set_vgpr_msb 64                       ;  msbs: dst=1 src0=0 src1=0 src2=0
	v_mov_b64_e32 v[28:29] /*v[284:285]*/, v[130:131]
	v_mov_b64_e32 v[26:27] /*v[282:283]*/, v[128:129]
	v_dual_mov_b32 v28 /*v284*/, v108 :: v_dual_mov_b32 v29 /*v285*/, v109
	s_set_vgpr_msb 4                        ;  msbs: dst=0 src0=0 src1=1 src2=0
	v_dual_mov_b32 v156, v66 :: v_dual_mov_b32 v157, v67
	v_fmac_f64_e32 v[158:159], v[168:169], v[136:137] /*v[392:393]*/
	s_set_vgpr_msb 64                       ;  msbs: dst=1 src0=0 src1=0 src2=0
	v_fmac_f64_e32 v[84:85] /*v[340:341]*/, v[176:177], v[176:177]
	v_fmac_f64_e32 v[116:117] /*v[372:373]*/, v[176:177], v[178:179]
	s_set_vgpr_msb 0x45                     ;  msbs: dst=1 src0=1 src1=1 src2=0
	v_fmac_f64_e32 v[112:113] /*v[368:369]*/, v[78:79] /*v[334:335]*/, v[78:79] /*v[334:335]*/
	v_fmac_f64_e32 v[80:81] /*v[336:337]*/, v[78:79] /*v[334:335]*/, v[56:57] /*v[312:313]*/
	v_mul_f64_e32 v[78:79] /*v[334:335]*/, v[76:77] /*v[332:333]*/, v[76:77] /*v[332:333]*/
	v_mul_f64_e32 v[76:77] /*v[332:333]*/, v[76:77] /*v[332:333]*/, v[60:61] /*v[316:317]*/
	s_wait_xcnt 0x1
	s_set_vgpr_msb 4                        ;  msbs: dst=0 src0=0 src1=1 src2=0
	v_fmac_f64_e32 v[38:39], v[168:169], v[86:87] /*v[342:343]*/
	v_dual_mov_b32 v176, v126 :: v_dual_mov_b32 v177, v127
	v_dual_mov_b32 v148, v18 :: v_dual_mov_b32 v149, v19
	;; [unrolled: 1-line block ×3, first 2 shown]
	v_mov_b32_e32 v170, v114
	s_set_vgpr_msb 0                        ;  msbs: dst=0 src0=0 src1=0 src2=0
	scratch_store_b128 off, v[172:175], off offset:880
	s_wait_xcnt 0x0
	v_dual_mov_b32 v175, v71 :: v_dual_mov_b32 v172, v86
	v_dual_mov_b32 v173, v87 :: v_dual_mov_b32 v174, v70
	;; [unrolled: 1-line block ×3, first 2 shown]
	s_set_vgpr_msb 4                        ;  msbs: dst=0 src0=0 src1=1 src2=0
	v_fmac_f64_e32 v[36:37], v[168:169], v[84:85] /*v[340:341]*/
	v_fmac_f64_e32 v[30:31], v[168:169], v[116:117] /*v[372:373]*/
	s_set_vgpr_msb 0x45                     ;  msbs: dst=1 src0=1 src1=1 src2=0
	v_fmac_f64_e32 v[112:113] /*v[368:369]*/, v[24:25] /*v[280:281]*/, v[24:25] /*v[280:281]*/
	s_set_vgpr_msb 0x41                     ;  msbs: dst=1 src0=1 src1=0 src2=0
	v_fmac_f64_e32 v[80:81] /*v[336:337]*/, v[24:25] /*v[280:281]*/, v[178:179]
	s_set_vgpr_msb 0x45                     ;  msbs: dst=1 src0=1 src1=1 src2=0
	v_fmac_f64_e32 v[78:79] /*v[334:335]*/, v[68:69] /*v[324:325]*/, v[68:69] /*v[324:325]*/
	v_fmac_f64_e32 v[76:77] /*v[332:333]*/, v[68:69] /*v[324:325]*/, v[56:57] /*v[312:313]*/
	v_mul_f64_e32 v[68:69] /*v[324:325]*/, v[70:71] /*v[326:327]*/, v[70:71] /*v[326:327]*/
	v_mul_f64_e32 v[70:71] /*v[326:327]*/, v[70:71] /*v[326:327]*/, v[60:61] /*v[316:317]*/
	s_set_vgpr_msb 64                       ;  msbs: dst=1 src0=0 src1=0 src2=0
	v_dual_mov_b32 v24 /*v280*/, v82 :: v_dual_mov_b32 v25 /*v281*/, v83
	s_set_vgpr_msb 4                        ;  msbs: dst=0 src0=0 src1=1 src2=0
	v_dual_mov_b32 v152, v38 :: v_dual_mov_b32 v153, v39
	v_fmac_f64_e32 v[154:155], v[168:169], v[112:113] /*v[368:369]*/
	v_fmac_f64_e32 v[22:23], v[168:169], v[80:81] /*v[336:337]*/
	s_set_vgpr_msb 0x45                     ;  msbs: dst=1 src0=1 src1=1 src2=0
	v_fmac_f64_e32 v[78:79] /*v[334:335]*/, v[22:23] /*v[278:279]*/, v[22:23] /*v[278:279]*/
	s_set_vgpr_msb 0x41                     ;  msbs: dst=1 src0=1 src1=0 src2=0
	v_fmac_f64_e32 v[76:77] /*v[332:333]*/, v[22:23] /*v[278:279]*/, v[178:179]
	s_set_vgpr_msb 0x45                     ;  msbs: dst=1 src0=1 src1=1 src2=0
	v_fmac_f64_e32 v[68:69] /*v[324:325]*/, v[62:63] /*v[318:319]*/, v[62:63] /*v[318:319]*/
	v_fmac_f64_e32 v[70:71] /*v[326:327]*/, v[62:63] /*v[318:319]*/, v[56:57] /*v[312:313]*/
	v_mul_f64_e32 v[62:63] /*v[318:319]*/, v[64:65] /*v[320:321]*/, v[64:65] /*v[320:321]*/
	v_mul_f64_e32 v[64:65] /*v[320:321]*/, v[64:65] /*v[320:321]*/, v[60:61] /*v[316:317]*/
	s_set_vgpr_msb 64                       ;  msbs: dst=1 src0=0 src1=0 src2=0
	v_dual_mov_b32 v22 /*v278*/, v98 :: v_dual_mov_b32 v23 /*v279*/, v99
	s_set_vgpr_msb 4                        ;  msbs: dst=0 src0=0 src1=1 src2=0
	v_fmac_f64_e32 v[16:17], v[168:169], v[78:79] /*v[334:335]*/
	v_fmac_f64_e32 v[14:15], v[168:169], v[76:77] /*v[332:333]*/
	s_set_vgpr_msb 64                       ;  msbs: dst=1 src0=0 src1=0 src2=0
	v_fmac_f64_e32 v[68:69] /*v[324:325]*/, v[182:183], v[182:183]
	v_fmac_f64_e32 v[70:71] /*v[326:327]*/, v[182:183], v[178:179]
	s_set_vgpr_msb 0x45                     ;  msbs: dst=1 src0=1 src1=1 src2=0
	v_fmac_f64_e32 v[62:63] /*v[318:319]*/, v[58:59] /*v[314:315]*/, v[58:59] /*v[314:315]*/
	v_fmac_f64_e32 v[64:65] /*v[320:321]*/, v[58:59] /*v[314:315]*/, v[56:57] /*v[312:313]*/
	v_mul_f64_e32 v[58:59] /*v[314:315]*/, v[60:61] /*v[316:317]*/, v[60:61] /*v[316:317]*/
	s_set_vgpr_msb 4                        ;  msbs: dst=0 src0=0 src1=1 src2=0
	v_dual_mov_b32 v182, v78 :: v_dual_mov_b32 v183, v79
	v_fmac_f64_e32 v[150:151], v[168:169], v[68:69] /*v[324:325]*/
	v_fmac_f64_e32 v[10:11], v[168:169], v[70:71] /*v[326:327]*/
	s_set_vgpr_msb 64                       ;  msbs: dst=1 src0=0 src1=0 src2=0
	v_fmac_f64_e32 v[62:63] /*v[318:319]*/, v[180:181], v[180:181]
	v_fmac_f64_e32 v[64:65] /*v[320:321]*/, v[180:181], v[178:179]
	s_set_vgpr_msb 0x45                     ;  msbs: dst=1 src0=1 src1=1 src2=0
	v_fmac_f64_e32 v[58:59] /*v[314:315]*/, v[56:57] /*v[312:313]*/, v[56:57] /*v[312:313]*/
	s_set_vgpr_msb 4                        ;  msbs: dst=0 src0=0 src1=1 src2=0
	v_dual_mov_b32 v180, v94 :: v_dual_mov_b32 v181, v95
	s_delay_alu instid0(VALU_DEP_4) | instskip(NEXT) | instid1(VALU_DEP_4)
	v_fmac_f64_e32 v[4:5], v[168:169], v[62:63] /*v[318:319]*/
	v_fmac_f64_e32 v[6:7], v[168:169], v[64:65] /*v[320:321]*/
	s_set_vgpr_msb 64                       ;  msbs: dst=1 src0=0 src1=0 src2=0
	s_delay_alu instid0(VALU_DEP_4)
	v_fmac_f64_e32 v[58:59] /*v[314:315]*/, v[178:179], v[178:179]
	s_set_vgpr_msb 0                        ;  msbs: dst=0 src0=0 src1=0 src2=0
	v_dual_mov_b32 v178, v106 :: v_dual_mov_b32 v179, v107
	scratch_store_b128 off, v[176:179], off offset:1072
	s_wait_xcnt 0x0
	v_dual_mov_b32 v176, v138 :: v_dual_mov_b32 v177, v139
	v_dual_mov_b32 v178, v118 :: v_dual_mov_b32 v179, v119
	;; [unrolled: 1-line block ×3, first 2 shown]
	s_set_vgpr_msb 4                        ;  msbs: dst=0 src0=0 src1=1 src2=0
	v_fmac_f64_e32 v[2:3], v[168:169], v[58:59] /*v[314:315]*/
	v_dual_mov_b32 v168, v134 :: v_dual_mov_b32 v169, v135
	s_set_vgpr_msb 0                        ;  msbs: dst=0 src0=0 src1=0 src2=0
	s_clause 0x3
	scratch_store_b128 off, v[168:171], off offset:688
	scratch_store_b128 off, v[176:179], off offset:496
	s_set_vgpr_msb 4                        ;  msbs: dst=0 src0=0 src1=1 src2=0
	scratch_store_b128 off, v[22:25] /*v[278:281]*/, off offset:512
	s_wait_xcnt 0x1
	v_mov_b64_e32 v[178:179], v[138:139]
	v_dual_mov_b32 v168, v90 :: v_dual_mov_b32 v169, v91
	v_dual_mov_b32 v170, v74 :: v_dual_mov_b32 v171, v75
	s_set_vgpr_msb 0                        ;  msbs: dst=0 src0=0 src1=0 src2=0
	s_clause 0x2
	scratch_store_b128 off, v[180:183], off offset:704
	s_set_vgpr_msb 4                        ;  msbs: dst=0 src0=0 src1=1 src2=0
	scratch_store_b128 off, v[26:29] /*v[282:285]*/, off offset:784
	v_dual_mov_b32 v178, v58 :: v_dual_mov_b32 v179, v59
	s_wait_xcnt 0x1
	v_dual_mov_b32 v180, v46 :: v_dual_mov_b32 v181, v47
	s_set_vgpr_msb 0                        ;  msbs: dst=0 src0=0 src1=0 src2=0
	scratch_store_b128 off, v[168:171], off offset:896
	s_wait_xcnt 0x0
	v_dual_mov_b32 v168, v54 :: v_dual_mov_b32 v169, v55
	v_dual_mov_b32 v170, v42 :: v_dual_mov_b32 v171, v43
	scratch_store_b128 off, v[172:175], off offset:1088
	s_wait_xcnt 0x0
	v_mov_b32_e32 v175, v27
	scratch_store_b128 off, v[178:181], off offset:912
	s_wait_xcnt 0x0
	v_dual_mov_b32 v178, v30 :: v_dual_mov_b32 v179, v31
	v_dual_mov_b32 v180, v22 :: v_dual_mov_b32 v181, v23
	s_set_vgpr_msb 64                       ;  msbs: dst=1 src0=0 src1=0 src2=0
	v_mov_b64_e32 v[24:25] /*v[280:281]*/, v[134:135]
	s_set_vgpr_msb 0                        ;  msbs: dst=0 src0=0 src1=0 src2=0
	v_mov_b64_e32 v[176:177], v[136:137]
	s_set_vgpr_msb 64                       ;  msbs: dst=1 src0=0 src1=0 src2=0
	v_mov_b64_e32 v[22:23] /*v[278:279]*/, v[132:133]
	v_mov_b32_e32 v24 /*v280*/, v112
	scratch_store_b128 off, v[178:181], off offset:1120
	s_wait_xcnt 0x0
	s_set_vgpr_msb 0                        ;  msbs: dst=0 src0=0 src1=0 src2=0
	v_dual_mov_b32 v178, v116 :: v_dual_mov_b32 v179, v117
	s_set_vgpr_msb 64                       ;  msbs: dst=1 src0=0 src1=0 src2=0
	v_mov_b32_e32 v25 /*v281*/, v113
	s_set_vgpr_msb 0                        ;  msbs: dst=0 src0=0 src1=0 src2=0
	v_dual_mov_b32 v172, v34 :: v_dual_mov_b32 v173, v35
	v_mov_b32_e32 v174, v26
	scratch_store_b128 off, v[168:171], off offset:1104
	s_wait_xcnt 0x0
	v_mov_b64_e32 v[170:171], v[98:99]
	s_clause 0x2
	scratch_store_b128 off, v[176:179], off offset:400
	s_set_vgpr_msb 4                        ;  msbs: dst=0 src0=0 src1=1 src2=0
	scratch_store_b128 off, v[22:25] /*v[278:281]*/, off offset:592
	s_wait_xcnt 0x0
	s_set_vgpr_msb 64                       ;  msbs: dst=1 src0=0 src1=0 src2=0
	v_mov_b64_e32 v[24:25] /*v[280:281]*/, v[126:127]
	s_set_vgpr_msb 0                        ;  msbs: dst=0 src0=0 src1=0 src2=0
	v_mov_b64_e32 v[168:169], v[96:97]
	s_set_vgpr_msb 64                       ;  msbs: dst=1 src0=0 src1=0 src2=0
	v_mov_b64_e32 v[22:23] /*v[278:279]*/, v[124:125]
	v_dual_mov_b32 v24 /*v280*/, v104 :: v_dual_mov_b32 v25 /*v281*/, v105
	scratch_store_b128 off, v[172:175], off offset:928
	s_wait_xcnt 0x0
	s_set_vgpr_msb 4                        ;  msbs: dst=0 src0=0 src1=1 src2=0
	v_mov_b64_e32 v[174:175], v[94:95]
	v_mov_b64_e32 v[172:173], v[92:93]
	v_dual_mov_b32 v170, v80 :: v_dual_mov_b32 v171, v81
	v_dual_mov_b32 v174, v76 :: v_dual_mov_b32 v175, v77
	v_mov_b64_e32 v[178:179], v[90:91]
	v_mov_b64_e32 v[176:177], v[88:89]
	;; [unrolled: 1-line block ×4, first 2 shown]
	s_clause 0x9
	scratch_store_b128 off, v[22:25] /*v[278:281]*/, off offset:976
	s_set_vgpr_msb 0                        ;  msbs: dst=0 src0=0 src1=0 src2=0
	scratch_store_b128 off, v[144:147], off offset:16
	scratch_store_b128 off, v[140:143], off offset:32
	;; [unrolled: 1-line block ×8, first 2 shown]
	s_wait_xcnt 0x1
	v_mov_b64_e32 v[170:171], v[142:143]
	v_dual_mov_b32 v178, v72 :: v_dual_mov_b32 v179, v73
	s_wait_xcnt 0x0
	v_mov_b64_e32 v[172:173], v[58:59]
	v_dual_mov_b32 v182, v68 :: v_dual_mov_b32 v183, v69
	v_mov_b64_e32 v[170:171], v[56:57]
	v_dual_mov_b32 v172, v44 :: v_dual_mov_b32 v173, v45
	scratch_store_b128 off, v[176:179], off offset:800
	s_wait_xcnt 0x0
	v_mov_b64_e32 v[176:177], v[54:55]
	v_mov_b64_e32 v[174:175], v[52:53]
	v_dual_mov_b32 v176, v40 :: v_dual_mov_b32 v177, v41
	scratch_store_b128 off, v[180:183], off offset:992
	s_wait_xcnt 0x0
	v_mov_b64_e32 v[180:181], v[34:35]
	v_mov_b64_e32 v[178:179], v[32:33]
	scratch_store_b128 off, v[170:173], off offset:816
	s_wait_xcnt 0x0
	v_mov_b64_e32 v[172:173], v[30:31]
	v_dual_mov_b32 v180, v24 :: v_dual_mov_b32 v181, v25
	v_mov_b64_e32 v[170:171], v[28:29]
	v_dual_mov_b32 v172, v20 :: v_dual_mov_b32 v173, v21
	v_mov_b64_e32 v[168:169], v[140:141]
	s_clause 0x9
	scratch_store_b128 off, v[174:177], off offset:1008
	scratch_store_b128 off, v[96:99], off offset:240
	;; [unrolled: 1-line block ×10, first 2 shown]
	s_wait_xcnt 0x0
	v_mov_b64_e32 v[180:181], v[62:63]
	s_clause 0x4
	scratch_store_b128 off, v[170:173], off offset:1024
	scratch_store_b128 off, v[32:35], off offset:656
	;; [unrolled: 1-line block ×5, first 2 shown]
	s_wait_xcnt 0x4
	v_dual_mov_b32 v170, v120 :: v_dual_mov_b32 v171, v121
	v_dual_mov_b32 v182, v50 :: v_dual_mov_b32 v183, v51
	v_mov_b64_e32 v[178:179], v[60:61]
	s_set_vgpr_msb 64                       ;  msbs: dst=1 src0=0 src1=0 src2=0
	v_mov_b32_e32 v22 /*v278*/, v14
	scratch_store_b128 off, v[168:171], off offset:208
	s_wait_xcnt 0x0
	s_set_vgpr_msb 0                        ;  msbs: dst=0 src0=0 src1=0 src2=0
	v_mov_b64_e32 v[170:171], v[14:15]
	scratch_store_b128 off, v[180:183], off offset:720
	s_wait_xcnt 0x0
	v_dual_mov_b32 v180, v48 :: v_dual_mov_b32 v181, v49
	v_mov_b64_e32 v[168:169], v[12:13]
	s_set_vgpr_msb 64                       ;  msbs: dst=1 src0=0 src1=0 src2=0
	v_dual_mov_b32 v23 /*v279*/, v15 :: v_dual_mov_b32 v24 /*v280*/, v10
	v_mov_b32_e32 v25 /*v281*/, v11
	s_set_vgpr_msb 0                        ;  msbs: dst=0 src0=0 src1=0 src2=0
	v_dual_mov_b32 v170, v8 :: v_dual_mov_b32 v171, v9
	v_dual_mov_b32 v174, v142 :: v_dual_mov_b32 v175, v143
	s_clause 0xd
	scratch_store_b128 off, v[116:119], off offset:144
	scratch_store_b128 off, v[112:115], off offset:160
	;; [unrolled: 1-line block ×14, first 2 shown]
	v_dual_mov_b32 v176, v122 :: v_dual_mov_b32 v177, v123
	s_clause 0xf
	scratch_store_b128 off, v[156:159], off offset:528
	scratch_store_b128 off, v[48:51], off offset:544
	scratch_store_b128 off, v[148:151], off offset:944
	scratch_store_b128 off, v[8:11], off offset:960
	scratch_store_b128 off, v[100:103], off offset:224
	scratch_store_b128 off, v[178:181], off offset:624
	scratch_store_b128 off, v[36:39], off offset:640
	s_set_vgpr_msb 4                        ;  msbs: dst=0 src0=0 src1=1 src2=0
	scratch_store_b128 off, v[22:25] /*v[278:281]*/, off offset:1136
	s_set_vgpr_msb 0                        ;  msbs: dst=0 src0=0 src1=0 src2=0
	scratch_store_b128 off, v[168:171], off offset:1040
	scratch_store_b128 off, v[4:7], off offset:1056
	;; [unrolled: 1-line block ×6, first 2 shown]
	s_cbranch_vccz .LBB1_4
; %bb.5:                                ;   in Loop: Header=BB1_3 Depth=2
	s_mov_b64 s[6:7], 0x3fe93cd3a2c8198e
	s_mov_b32 s8, 8
	s_and_b32 vcc_lo, exec_lo, s12
	s_mov_b32 s12, 0
	s_cbranch_vccz .LBB1_3
; %bb.6:                                ;   in Loop: Header=BB1_2 Depth=1
	s_mov_b64 s[4:5], 0x3fe93cd3a2c8198e
	s_mov_b32 s10, 8
	s_and_b32 vcc_lo, exec_lo, s11
	s_mov_b32 s8, 0
	s_cbranch_vccz .LBB1_2
; %bb.7:
	s_wait_xcnt 0x0
	v_mov_b64_e32 v[0:1], 0
	s_mov_b32 s2, 0
.LBB1_8:                                ; =>This Inner Loop Header: Depth=1
	s_wait_xcnt 0x0
	s_add_co_i32 s3, s2, 16
	s_addk_co_i32 s2, 0x120
	s_clause 0x10
	scratch_load_b128 v[2:5], off, s3
	scratch_load_b128 v[6:9], off, s3 offset:96
	scratch_load_b128 v[10:13], off, s3 offset:192
	;; [unrolled: 1-line block ×16, first 2 shown]
	s_cmp_lg_u32 s2, 0x480
	s_wait_loadcnt 0x10
	v_add_f64_e32 v[2:3], 0, v[2:3]
	s_wait_loadcnt 0xf
	v_add_f64_e32 v[6:7], 0, v[6:7]
	;; [unrolled: 2-line block ×3, first 2 shown]
	s_delay_alu instid0(VALU_DEP_3)
	v_add_f64_e32 v[70:71], v[2:3], v[4:5]
	scratch_load_b128 v[2:5], off, s3 offset:272
	v_add_f64_e32 v[6:7], v[6:7], v[8:9]
	v_add_f64_e32 v[10:11], v[10:11], v[12:13]
	s_wait_loadcnt 0xe
	v_add_f64_e32 v[8:9], v[70:71], v[14:15]
	s_wait_loadcnt 0xd
	s_delay_alu instid0(VALU_DEP_3) | instskip(SKIP_1) | instid1(VALU_DEP_3)
	v_add_f64_e32 v[6:7], v[6:7], v[18:19]
	s_wait_loadcnt 0xc
	v_add_f64_e32 v[10:11], v[10:11], v[22:23]
	s_delay_alu instid0(VALU_DEP_3) | instskip(NEXT) | instid1(VALU_DEP_3)
	v_add_f64_e32 v[8:9], v[8:9], v[16:17]
	v_add_f64_e32 v[6:7], v[6:7], v[20:21]
	s_delay_alu instid0(VALU_DEP_3) | instskip(SKIP_1) | instid1(VALU_DEP_3)
	v_add_f64_e32 v[10:11], v[10:11], v[24:25]
	s_wait_loadcnt 0xb
	v_add_f64_e32 v[8:9], v[8:9], v[26:27]
	s_wait_loadcnt 0xa
	s_delay_alu instid0(VALU_DEP_3) | instskip(SKIP_1) | instid1(VALU_DEP_3)
	v_add_f64_e32 v[6:7], v[6:7], v[30:31]
	s_wait_loadcnt 0x9
	v_add_f64_e32 v[10:11], v[10:11], v[34:35]
	s_delay_alu instid0(VALU_DEP_3) | instskip(NEXT) | instid1(VALU_DEP_3)
	v_add_f64_e32 v[8:9], v[8:9], v[28:29]
	v_add_f64_e32 v[6:7], v[6:7], v[32:33]
	s_delay_alu instid0(VALU_DEP_3) | instskip(SKIP_1) | instid1(VALU_DEP_3)
	;; [unrolled: 12-line block ×4, first 2 shown]
	v_add_f64_e32 v[10:11], v[10:11], v[60:61]
	s_wait_loadcnt 0x2
	v_add_f64_e32 v[8:9], v[8:9], v[62:63]
	s_wait_loadcnt 0x1
	s_delay_alu instid0(VALU_DEP_3) | instskip(NEXT) | instid1(VALU_DEP_2)
	v_add_f64_e32 v[6:7], v[6:7], v[66:67]
	v_add_f64_e32 v[8:9], v[8:9], v[64:65]
	s_wait_loadcnt 0x0
	s_delay_alu instid0(VALU_DEP_4) | instskip(NEXT) | instid1(VALU_DEP_3)
	v_add_f64_e32 v[2:3], v[10:11], v[2:3]
	v_add_f64_e32 v[6:7], v[6:7], v[68:69]
	s_delay_alu instid0(VALU_DEP_3) | instskip(NEXT) | instid1(VALU_DEP_3)
	v_add_f64_e32 v[0:1], v[0:1], v[8:9]
	v_add_f64_e32 v[2:3], v[2:3], v[4:5]
	s_delay_alu instid0(VALU_DEP_2) | instskip(NEXT) | instid1(VALU_DEP_1)
	v_add_f64_e32 v[0:1], v[0:1], v[6:7]
	v_add_f64_e32 v[0:1], v[0:1], v[2:3]
	s_cbranch_scc1 .LBB1_8
; %bb.9:
	v_lshl_add_u64 v[2:3], v[184:185], 3, s[0:1]
	global_store_b64 v[2:3], v[0:1], off
.LBB1_10:
	s_sendmsg sendmsg(MSG_DEALLOC_VGPRS)
	s_endpgm
	.section	.rodata,"a",@progbits
	.p2align	6, 0x0
	.amdhsa_kernel _ZN8rajaperf17lambda_hip_forallILm256EZNS_4apps6EDGE3D17runHipVariantImplILm256EEEvNS_9VariantIDEEUllE_EEvllT0_
		.amdhsa_group_segment_fixed_size 0
		.amdhsa_private_segment_fixed_size 1184
		.amdhsa_kernarg_size 216
		.amdhsa_user_sgpr_count 2
		.amdhsa_user_sgpr_dispatch_ptr 0
		.amdhsa_user_sgpr_queue_ptr 0
		.amdhsa_user_sgpr_kernarg_segment_ptr 1
		.amdhsa_user_sgpr_dispatch_id 0
		.amdhsa_user_sgpr_kernarg_preload_length 0
		.amdhsa_user_sgpr_kernarg_preload_offset 0
		.amdhsa_user_sgpr_private_segment_size 0
		.amdhsa_wavefront_size32 1
		.amdhsa_uses_dynamic_stack 0
		.amdhsa_enable_private_segment 1
		.amdhsa_system_sgpr_workgroup_id_x 1
		.amdhsa_system_sgpr_workgroup_id_y 0
		.amdhsa_system_sgpr_workgroup_id_z 0
		.amdhsa_system_sgpr_workgroup_info 0
		.amdhsa_system_vgpr_workitem_id 0
		.amdhsa_next_free_vgpr 472
		.amdhsa_next_free_sgpr 68
		.amdhsa_named_barrier_count 0
		.amdhsa_reserve_vcc 1
		.amdhsa_float_round_mode_32 0
		.amdhsa_float_round_mode_16_64 0
		.amdhsa_float_denorm_mode_32 3
		.amdhsa_float_denorm_mode_16_64 3
		.amdhsa_fp16_overflow 0
		.amdhsa_memory_ordered 1
		.amdhsa_forward_progress 1
		.amdhsa_inst_pref_size 98
		.amdhsa_round_robin_scheduling 0
		.amdhsa_exception_fp_ieee_invalid_op 0
		.amdhsa_exception_fp_denorm_src 0
		.amdhsa_exception_fp_ieee_div_zero 0
		.amdhsa_exception_fp_ieee_overflow 0
		.amdhsa_exception_fp_ieee_underflow 0
		.amdhsa_exception_fp_ieee_inexact 0
		.amdhsa_exception_int_div_zero 0
	.end_amdhsa_kernel
	.section	.text._ZN8rajaperf17lambda_hip_forallILm256EZNS_4apps6EDGE3D17runHipVariantImplILm256EEEvNS_9VariantIDEEUllE_EEvllT0_,"axG",@progbits,_ZN8rajaperf17lambda_hip_forallILm256EZNS_4apps6EDGE3D17runHipVariantImplILm256EEEvNS_9VariantIDEEUllE_EEvllT0_,comdat
.Lfunc_end1:
	.size	_ZN8rajaperf17lambda_hip_forallILm256EZNS_4apps6EDGE3D17runHipVariantImplILm256EEEvNS_9VariantIDEEUllE_EEvllT0_, .Lfunc_end1-_ZN8rajaperf17lambda_hip_forallILm256EZNS_4apps6EDGE3D17runHipVariantImplILm256EEEvNS_9VariantIDEEUllE_EEvllT0_
                                        ; -- End function
	.set _ZN8rajaperf17lambda_hip_forallILm256EZNS_4apps6EDGE3D17runHipVariantImplILm256EEEvNS_9VariantIDEEUllE_EEvllT0_.num_vgpr, 472
	.set _ZN8rajaperf17lambda_hip_forallILm256EZNS_4apps6EDGE3D17runHipVariantImplILm256EEEvNS_9VariantIDEEUllE_EEvllT0_.num_agpr, 0
	.set _ZN8rajaperf17lambda_hip_forallILm256EZNS_4apps6EDGE3D17runHipVariantImplILm256EEEvNS_9VariantIDEEUllE_EEvllT0_.numbered_sgpr, 68
	.set _ZN8rajaperf17lambda_hip_forallILm256EZNS_4apps6EDGE3D17runHipVariantImplILm256EEEvNS_9VariantIDEEUllE_EEvllT0_.num_named_barrier, 0
	.set _ZN8rajaperf17lambda_hip_forallILm256EZNS_4apps6EDGE3D17runHipVariantImplILm256EEEvNS_9VariantIDEEUllE_EEvllT0_.private_seg_size, 1184
	.set _ZN8rajaperf17lambda_hip_forallILm256EZNS_4apps6EDGE3D17runHipVariantImplILm256EEEvNS_9VariantIDEEUllE_EEvllT0_.uses_vcc, 1
	.set _ZN8rajaperf17lambda_hip_forallILm256EZNS_4apps6EDGE3D17runHipVariantImplILm256EEEvNS_9VariantIDEEUllE_EEvllT0_.uses_flat_scratch, 1
	.set _ZN8rajaperf17lambda_hip_forallILm256EZNS_4apps6EDGE3D17runHipVariantImplILm256EEEvNS_9VariantIDEEUllE_EEvllT0_.has_dyn_sized_stack, 0
	.set _ZN8rajaperf17lambda_hip_forallILm256EZNS_4apps6EDGE3D17runHipVariantImplILm256EEEvNS_9VariantIDEEUllE_EEvllT0_.has_recursion, 0
	.set _ZN8rajaperf17lambda_hip_forallILm256EZNS_4apps6EDGE3D17runHipVariantImplILm256EEEvNS_9VariantIDEEUllE_EEvllT0_.has_indirect_call, 0
	.section	.AMDGPU.csdata,"",@progbits
; Kernel info:
; codeLenInByte = 12432
; TotalNumSgprs: 70
; NumVgprs: 472
; ScratchSize: 1184
; MemoryBound: 0
; FloatMode: 240
; IeeeMode: 1
; LDSByteSize: 0 bytes/workgroup (compile time only)
; SGPRBlocks: 0
; VGPRBlocks: 29
; NumSGPRsForWavesPerEU: 70
; NumVGPRsForWavesPerEU: 472
; NamedBarCnt: 0
; Occupancy: 2
; WaveLimiterHint : 1
; COMPUTE_PGM_RSRC2:SCRATCH_EN: 1
; COMPUTE_PGM_RSRC2:USER_SGPR: 2
; COMPUTE_PGM_RSRC2:TRAP_HANDLER: 0
; COMPUTE_PGM_RSRC2:TGID_X_EN: 1
; COMPUTE_PGM_RSRC2:TGID_Y_EN: 0
; COMPUTE_PGM_RSRC2:TGID_Z_EN: 0
; COMPUTE_PGM_RSRC2:TIDIG_COMP_CNT: 0
	.section	.text._ZN4RAJA6policy3hip4impl18forallp_hip_kernelINS1_8hip_execINS_17iteration_mapping6DirectENS_3hip11IndexGlobalILNS_9named_dimE0ELi256ELi0EEENS7_40AvoidDeviceMaxThreadOccupancyConcretizerINS7_34FractionOffsetOccupancyConcretizerINS_8FractionImLm1ELm1EEELln1EEEEELb1EEENS_9Iterators16numeric_iteratorIllPlEEZN8rajaperf4apps6EDGE3D17runHipVariantImplILm256EEEvNSM_9VariantIDEEUllE0_lNS_4expt15ForallParamPackIJEEES6_SA_TnNSt9enable_ifIXaasr3std10is_base_ofINS5_10DirectBaseET4_EE5valuegtsrT5_10block_sizeLi0EEmE4typeELm256EEEvT1_T0_T2_T3_,"axG",@progbits,_ZN4RAJA6policy3hip4impl18forallp_hip_kernelINS1_8hip_execINS_17iteration_mapping6DirectENS_3hip11IndexGlobalILNS_9named_dimE0ELi256ELi0EEENS7_40AvoidDeviceMaxThreadOccupancyConcretizerINS7_34FractionOffsetOccupancyConcretizerINS_8FractionImLm1ELm1EEELln1EEEEELb1EEENS_9Iterators16numeric_iteratorIllPlEEZN8rajaperf4apps6EDGE3D17runHipVariantImplILm256EEEvNSM_9VariantIDEEUllE0_lNS_4expt15ForallParamPackIJEEES6_SA_TnNSt9enable_ifIXaasr3std10is_base_ofINS5_10DirectBaseET4_EE5valuegtsrT5_10block_sizeLi0EEmE4typeELm256EEEvT1_T0_T2_T3_,comdat
	.protected	_ZN4RAJA6policy3hip4impl18forallp_hip_kernelINS1_8hip_execINS_17iteration_mapping6DirectENS_3hip11IndexGlobalILNS_9named_dimE0ELi256ELi0EEENS7_40AvoidDeviceMaxThreadOccupancyConcretizerINS7_34FractionOffsetOccupancyConcretizerINS_8FractionImLm1ELm1EEELln1EEEEELb1EEENS_9Iterators16numeric_iteratorIllPlEEZN8rajaperf4apps6EDGE3D17runHipVariantImplILm256EEEvNSM_9VariantIDEEUllE0_lNS_4expt15ForallParamPackIJEEES6_SA_TnNSt9enable_ifIXaasr3std10is_base_ofINS5_10DirectBaseET4_EE5valuegtsrT5_10block_sizeLi0EEmE4typeELm256EEEvT1_T0_T2_T3_ ; -- Begin function _ZN4RAJA6policy3hip4impl18forallp_hip_kernelINS1_8hip_execINS_17iteration_mapping6DirectENS_3hip11IndexGlobalILNS_9named_dimE0ELi256ELi0EEENS7_40AvoidDeviceMaxThreadOccupancyConcretizerINS7_34FractionOffsetOccupancyConcretizerINS_8FractionImLm1ELm1EEELln1EEEEELb1EEENS_9Iterators16numeric_iteratorIllPlEEZN8rajaperf4apps6EDGE3D17runHipVariantImplILm256EEEvNSM_9VariantIDEEUllE0_lNS_4expt15ForallParamPackIJEEES6_SA_TnNSt9enable_ifIXaasr3std10is_base_ofINS5_10DirectBaseET4_EE5valuegtsrT5_10block_sizeLi0EEmE4typeELm256EEEvT1_T0_T2_T3_
	.globl	_ZN4RAJA6policy3hip4impl18forallp_hip_kernelINS1_8hip_execINS_17iteration_mapping6DirectENS_3hip11IndexGlobalILNS_9named_dimE0ELi256ELi0EEENS7_40AvoidDeviceMaxThreadOccupancyConcretizerINS7_34FractionOffsetOccupancyConcretizerINS_8FractionImLm1ELm1EEELln1EEEEELb1EEENS_9Iterators16numeric_iteratorIllPlEEZN8rajaperf4apps6EDGE3D17runHipVariantImplILm256EEEvNSM_9VariantIDEEUllE0_lNS_4expt15ForallParamPackIJEEES6_SA_TnNSt9enable_ifIXaasr3std10is_base_ofINS5_10DirectBaseET4_EE5valuegtsrT5_10block_sizeLi0EEmE4typeELm256EEEvT1_T0_T2_T3_
	.p2align	8
	.type	_ZN4RAJA6policy3hip4impl18forallp_hip_kernelINS1_8hip_execINS_17iteration_mapping6DirectENS_3hip11IndexGlobalILNS_9named_dimE0ELi256ELi0EEENS7_40AvoidDeviceMaxThreadOccupancyConcretizerINS7_34FractionOffsetOccupancyConcretizerINS_8FractionImLm1ELm1EEELln1EEEEELb1EEENS_9Iterators16numeric_iteratorIllPlEEZN8rajaperf4apps6EDGE3D17runHipVariantImplILm256EEEvNSM_9VariantIDEEUllE0_lNS_4expt15ForallParamPackIJEEES6_SA_TnNSt9enable_ifIXaasr3std10is_base_ofINS5_10DirectBaseET4_EE5valuegtsrT5_10block_sizeLi0EEmE4typeELm256EEEvT1_T0_T2_T3_,@function
_ZN4RAJA6policy3hip4impl18forallp_hip_kernelINS1_8hip_execINS_17iteration_mapping6DirectENS_3hip11IndexGlobalILNS_9named_dimE0ELi256ELi0EEENS7_40AvoidDeviceMaxThreadOccupancyConcretizerINS7_34FractionOffsetOccupancyConcretizerINS_8FractionImLm1ELm1EEELln1EEEEELb1EEENS_9Iterators16numeric_iteratorIllPlEEZN8rajaperf4apps6EDGE3D17runHipVariantImplILm256EEEvNSM_9VariantIDEEUllE0_lNS_4expt15ForallParamPackIJEEES6_SA_TnNSt9enable_ifIXaasr3std10is_base_ofINS5_10DirectBaseET4_EE5valuegtsrT5_10block_sizeLi0EEmE4typeELm256EEEvT1_T0_T2_T3_: ; @_ZN4RAJA6policy3hip4impl18forallp_hip_kernelINS1_8hip_execINS_17iteration_mapping6DirectENS_3hip11IndexGlobalILNS_9named_dimE0ELi256ELi0EEENS7_40AvoidDeviceMaxThreadOccupancyConcretizerINS7_34FractionOffsetOccupancyConcretizerINS_8FractionImLm1ELm1EEELln1EEEEELb1EEENS_9Iterators16numeric_iteratorIllPlEEZN8rajaperf4apps6EDGE3D17runHipVariantImplILm256EEEvNSM_9VariantIDEEUllE0_lNS_4expt15ForallParamPackIJEEES6_SA_TnNSt9enable_ifIXaasr3std10is_base_ofINS5_10DirectBaseET4_EE5valuegtsrT5_10block_sizeLi0EEmE4typeELm256EEEvT1_T0_T2_T3_
; %bb.0:
	s_load_b64 s[2:3], s[0:1], 0xd0
	s_bfe_u32 s4, ttmp6, 0x4000c
	s_and_b32 s5, ttmp6, 15
	s_add_co_i32 s4, s4, 1
	s_getreg_b32 s6, hwreg(HW_REG_IB_STS2, 6, 4)
	s_mul_i32 s4, ttmp9, s4
	s_mov_b32 s25, 0
	s_add_co_i32 s5, s5, s4
	s_cmp_eq_u32 s6, 0
	s_cselect_b32 s24, ttmp9, s5
	s_delay_alu instid0(SALU_CYCLE_1) | instskip(NEXT) | instid1(SALU_CYCLE_1)
	s_lshl_b64 s[4:5], s[24:25], 8
	v_dual_mov_b32 v1, s5 :: v_dual_bitop2_b32 v0, s4, v0 bitop3:0x54
	s_wait_kmcnt 0x0
	s_delay_alu instid0(VALU_DEP_1)
	v_cmp_gt_i64_e32 vcc_lo, s[2:3], v[0:1]
	s_and_saveexec_b32 s2, vcc_lo
	s_cbranch_execz .LBB2_10
; %bb.1:
	s_clause 0x3
	s_load_b128 s[20:23], s[0:1], 0xc0
	s_load_b512 s[36:51], s[0:1], 0x0
	s_load_b512 s[52:67], s[0:1], 0x40
	;; [unrolled: 1-line block ×3, first 2 shown]
	s_mov_b32 s26, s25
	s_mov_b32 s27, s25
	s_mov_b32 s24, s25
	v_mov_b64_e32 v[170:171], s[26:27]
	v_mov_b64_e32 v[34:35], 0
	;; [unrolled: 1-line block ×13, first 2 shown]
	s_wait_kmcnt 0x0
	v_add_nc_u64_e32 v[184:185], s[22:23], v[0:1]
	v_mov_b64_e32 v[82:83], 0
	v_mov_b64_e32 v[86:87], 0
	;; [unrolled: 1-line block ×6, first 2 shown]
	v_lshlrev_b64_e32 v[0:1], 3, v[184:185]
	v_mov_b64_e32 v[102:103], 0
	v_mov_b64_e32 v[150:151], 0
	;; [unrolled: 1-line block ×6, first 2 shown]
	v_add_nc_u64_e32 v[2:3], s[36:37], v[0:1]
	v_add_nc_u64_e32 v[4:5], s[38:39], v[0:1]
	;; [unrolled: 1-line block ×16, first 2 shown]
	global_load_b64 v[100:101], v[2:3], off
	global_load_b64 v[104:105], v[4:5], off
	;; [unrolled: 1-line block ×16, first 2 shown]
	s_wait_xcnt 0xe
	v_add_nc_u64_e32 v[4:5], s[6:7], v[0:1]
	s_wait_xcnt 0xd
	v_add_nc_u64_e32 v[6:7], s[14:15], v[0:1]
	v_add_nc_u64_e32 v[2:3], s[4:5], v[0:1]
	s_wait_xcnt 0xc
	v_add_nc_u64_e32 v[8:9], s[8:9], v[0:1]
	s_wait_xcnt 0xa
	v_add_nc_u64_e32 v[12:13], s[16:17], v[0:1]
	v_add_nc_u64_e32 v[10:11], s[10:11], v[0:1]
	s_wait_xcnt 0x9
	v_add_nc_u64_e32 v[14:15], s[12:13], v[0:1]
	v_add_nc_u64_e32 v[0:1], s[18:19], v[0:1]
	global_load_b64 v[134:135], v[4:5], off
	global_load_b64 v[136:137], v[6:7], off
	global_load_b64 v[138:139], v[2:3], off
	global_load_b64 v[140:141], v[8:9], off
	global_load_b64 v[142:143], v[12:13], off
	global_load_b64 v[144:145], v[10:11], off
	global_load_b64 v[146:147], v[14:15], off
	global_load_b64 v[148:149], v[0:1], off
	s_wait_xcnt 0x5
	v_mov_b64_e32 v[2:3], 0
	s_wait_xcnt 0x0
	v_mov_b64_e32 v[0:1], 0.5
	v_mov_b64_e32 v[6:7], 0
	v_mov_b64_e32 v[10:11], 0
	v_mov_b64_e32 v[14:15], 0
	v_mov_b64_e32 v[18:19], 0
	v_mov_b64_e32 v[22:23], 0
	v_mov_b64_e32 v[26:27], 0
	v_mov_b64_e32 v[30:31], 0
	v_mov_b64_e32 v[4:5], v[2:3]
	v_mov_b64_e32 v[8:9], v[2:3]
	v_mov_b64_e32 v[12:13], v[2:3]
	v_mov_b64_e32 v[16:17], v[2:3]
	v_mov_b64_e32 v[20:21], v[2:3]
	v_mov_b64_e32 v[24:25], v[2:3]
	v_mov_b64_e32 v[28:29], v[2:3]
	v_mov_b64_e32 v[32:33], v[2:3]
	v_mov_b64_e32 v[36:37], v[2:3]
	v_mov_b64_e32 v[40:41], v[2:3]
	v_mov_b64_e32 v[44:45], v[2:3]
	v_mov_b64_e32 v[48:49], v[2:3]
	v_mov_b64_e32 v[52:53], v[2:3]
	v_mov_b64_e32 v[56:57], v[2:3]
	v_mov_b64_e32 v[60:61], v[2:3]
	v_mov_b64_e32 v[64:65], v[2:3]
	v_mov_b64_e32 v[68:69], v[2:3]
	v_mov_b64_e32 v[72:73], v[2:3]
	v_mov_b64_e32 v[76:77], v[2:3]
	v_mov_b64_e32 v[80:81], v[2:3]
	v_mov_b64_e32 v[84:85], v[2:3]
	v_mov_b64_e32 v[88:89], v[2:3]
	v_mov_b64_e32 v[92:93], v[2:3]
	v_mov_b64_e32 v[96:97], v[2:3]
	s_mov_b32 s8, 0
	s_mov_b64 s[2:3], 0x3fcb0cb174df99c7
	s_mov_b32 s6, -1
	s_mov_b64 s[0:1], 0x358dee7a4ad4b81f
	s_clause 0x2b
	scratch_store_b64 off, v[0:1], off
	scratch_store_b64 off, v[0:1], off offset:8
	scratch_store_b128 off, v[168:171], off offset:16
	scratch_store_b128 off, v[168:171], off offset:32
	;; [unrolled: 1-line block ×31, first 2 shown]
	scratch_store_b64 off, v[2:3], off offset:200
	scratch_store_b128 off, v[168:171], off offset:376
	scratch_store_b64 off, v[2:3], off offset:392
	scratch_store_b128 off, v[168:171], off offset:568
	;; [unrolled: 2-line block ×5, first 2 shown]
	scratch_store_b64 off, v[2:3], off offset:1160
	s_wait_loadcnt 0x16
	v_add_f64_e64 v[202:203], v[104:105], -v[100:101]
	s_wait_loadcnt 0x15
	v_add_f64_e64 v[208:209], v[106:107], -v[104:105]
	;; [unrolled: 2-line block ×7, first 2 shown]
	v_add_f64_e64 v[206:207], v[106:107], -v[108:109]
	v_add_f64_e64 v[210:211], v[112:113], -v[110:111]
	;; [unrolled: 1-line block ×4, first 2 shown]
	s_wait_loadcnt 0xb
	v_add_f64_e64 v[194:195], v[126:127], -v[118:119]
	s_wait_loadcnt 0xa
	v_add_f64_e64 v[196:197], v[128:129], -v[120:121]
	;; [unrolled: 2-line block ×4, first 2 shown]
	v_add_f64_e64 v[216:217], v[114:115], -v[112:113]
	v_add_f64_e64 v[218:219], v[120:121], -v[118:119]
	;; [unrolled: 1-line block ×9, first 2 shown]
	s_wait_loadcnt 0x6
	v_add_f64_e64 v[234:235], v[136:137], -v[134:135]
	s_wait_loadcnt 0x5
	v_add_f64_e64 v[236:237], v[134:135], -v[138:139]
	;; [unrolled: 2-line block ×6, first 2 shown]
	v_add_f64_e64 v[246:247], v[144:145], -v[138:139]
	s_wait_loadcnt 0x0
	v_add_f64_e64 v[248:249], v[148:149], -v[144:145]
	v_add_f64_e64 v[250:251], v[136:137], -v[146:147]
	;; [unrolled: 1-line block ×4, first 2 shown]
	s_set_vgpr_msb 64                       ;  msbs: dst=1 src0=0 src1=0 src2=0
	v_add_f64_e64 v[0:1] /*v[256:257]*/, v[142:143], -v[136:137]
	s_set_vgpr_msb 0                        ;  msbs: dst=0 src0=0 src1=0 src2=0
	v_mov_b64_e32 v[100:101], v[2:3]
	v_mov_b64_e32 v[106:107], 0
	;; [unrolled: 1-line block ×23, first 2 shown]
.LBB2_2:                                ; =>This Loop Header: Depth=1
                                        ;     Child Loop BB2_3 Depth 2
                                        ;       Child Loop BB2_4 Depth 3
	s_set_vgpr_msb 64                       ;  msbs: dst=1 src0=0 src1=0 src2=0
	v_add_f64_e64 v[2:3] /*v[258:259]*/, -s[2:3], 1.0
	s_mov_b64 s[4:5], 0x3fcb0cb174df99c7
	s_xor_b32 s9, s6, -1
	s_mov_b32 s10, -1
	s_mov_b32 s6, 0
.LBB2_3:                                ;   Parent Loop BB2_2 Depth=1
                                        ; =>  This Loop Header: Depth=2
                                        ;       Child Loop BB2_4 Depth 3
	s_set_vgpr_msb 0                        ;  msbs: dst=0 src0=0 src1=0 src2=0
	scratch_load_b64 v[0:1], off, s8
	scratch_load_b64 v[148:149], off, s6
	s_set_vgpr_msb 0x45                     ;  msbs: dst=1 src0=1 src1=1 src2=0
	v_add_f64_e64 v[4:5] /*v[260:261]*/, -s[4:5], 1.0
	v_mul_f64_e64 v[16:17] /*v[272:273]*/, s[2:3], s[4:5]
	v_mul_f64_e32 v[18:19] /*v[274:275]*/, s[4:5], v[2:3] /*v[258:259]*/
	s_wait_xcnt 0x0
	s_mov_b64 s[6:7], 0x3fcb0cb174df99c7
	s_mov_b32 s11, -1
	s_xor_b32 s10, s10, -1
	s_mov_b32 s12, 0
	s_delay_alu instid0(VALU_DEP_3) | instskip(SKIP_2) | instid1(VALU_DEP_2)
	v_mul_f64_e32 v[6:7] /*v[262:263]*/, s[2:3], v[4:5] /*v[260:261]*/
	v_mul_f64_e32 v[8:9] /*v[264:265]*/, v[2:3] /*v[258:259]*/, v[4:5] /*v[260:261]*/
	s_set_vgpr_msb 0x44                     ;  msbs: dst=1 src0=0 src1=1 src2=0
	v_mul_f64_e32 v[10:11] /*v[266:267]*/, v[188:189], v[6:7] /*v[262:263]*/
	v_mul_f64_e32 v[12:13] /*v[268:269]*/, v[196:197], v[6:7] /*v[262:263]*/
	;; [unrolled: 1-line block ×3, first 2 shown]
	s_delay_alu instid0(VALU_DEP_3) | instskip(NEXT) | instid1(VALU_DEP_3)
	v_fmac_f64_e32 v[10:11] /*v[266:267]*/, v[186:187], v[8:9] /*v[264:265]*/
	v_fmac_f64_e32 v[12:13] /*v[268:269]*/, v[194:195], v[8:9] /*v[264:265]*/
	s_delay_alu instid0(VALU_DEP_3) | instskip(NEXT) | instid1(VALU_DEP_3)
	v_fmac_f64_e32 v[14:15] /*v[270:271]*/, v[244:245], v[8:9] /*v[264:265]*/
	v_fmac_f64_e32 v[10:11] /*v[266:267]*/, v[190:191], v[16:17] /*v[272:273]*/
	s_delay_alu instid0(VALU_DEP_3) | instskip(NEXT) | instid1(VALU_DEP_3)
	v_fmac_f64_e32 v[12:13] /*v[268:269]*/, v[198:199], v[16:17] /*v[272:273]*/
	v_fmac_f64_e32 v[14:15] /*v[270:271]*/, v[240:241], v[16:17] /*v[272:273]*/
	s_delay_alu instid0(VALU_DEP_3) | instskip(NEXT) | instid1(VALU_DEP_3)
	v_fmac_f64_e32 v[10:11] /*v[266:267]*/, v[192:193], v[18:19] /*v[274:275]*/
	v_fmac_f64_e32 v[12:13] /*v[268:269]*/, v[200:201], v[18:19] /*v[274:275]*/
	s_delay_alu instid0(VALU_DEP_3)
	v_fmac_f64_e32 v[14:15] /*v[270:271]*/, v[248:249], v[18:19] /*v[274:275]*/
	s_wait_loadcnt 0x0
	s_set_vgpr_msb 64                       ;  msbs: dst=1 src0=0 src1=0 src2=0
	v_mul_f64_e32 v[20:21] /*v[276:277]*/, v[0:1], v[148:149]
.LBB2_4:                                ;   Parent Loop BB2_2 Depth=1
                                        ;     Parent Loop BB2_3 Depth=2
                                        ; =>    This Inner Loop Header: Depth=3
	s_wait_xcnt 0x3
	s_set_vgpr_msb 4                        ;  msbs: dst=0 src0=0 src1=1 src2=0
	v_add_f64_e64 v[176:177], -s[6:7], 1.0
	s_wait_xcnt 0x2
	v_mul_f64_e32 v[160:161], s[6:7], v[4:5] /*v[260:261]*/
	v_mul_f64_e32 v[172:173], s[6:7], v[2:3] /*v[258:259]*/
	v_mul_f64_e64 v[164:165], s[4:5], s[6:7]
	v_mul_f64_e64 v[170:171], s[2:3], s[6:7]
	s_set_vgpr_msb 1                        ;  msbs: dst=0 src0=1 src1=0 src2=0
	v_mul_f64_e32 v[148:149], s[4:5], v[176:177]
	s_wait_xcnt 0x0
	v_mul_f64_e32 v[0:1], v[2:3] /*v[258:259]*/, v[176:177]
	v_mul_f64_e32 v[156:157], v[4:5] /*v[260:261]*/, v[176:177]
	v_mul_f64_e32 v[152:153], s[2:3], v[176:177]
	s_set_vgpr_msb 0                        ;  msbs: dst=0 src0=0 src1=0 src2=0
	s_delay_alu instid0(VALU_DEP_4) | instskip(SKIP_1) | instid1(VALU_DEP_4)
	v_mul_f64_e32 v[178:179], v[242:243], v[148:149]
	s_set_vgpr_msb 64                       ;  msbs: dst=1 src0=0 src1=0 src2=0
	v_mul_f64_e32 v[22:23] /*v[278:279]*/, v[220:221], v[0:1]
	s_set_vgpr_msb 0                        ;  msbs: dst=0 src0=0 src1=0 src2=0
	v_mul_f64_e32 v[182:183], v[222:223], v[148:149]
	v_mul_f64_e32 v[180:181], v[246:247], v[0:1]
	s_set_vgpr_msb 64                       ;  msbs: dst=1 src0=0 src1=0 src2=0
	v_mul_f64_e32 v[24:25] /*v[280:281]*/, v[204:205], v[0:1]
	v_mul_f64_e32 v[26:27] /*v[282:283]*/, v[206:207], v[148:149]
	s_set_vgpr_msb 0                        ;  msbs: dst=0 src0=0 src1=0 src2=0
	v_fmac_f64_e32 v[178:179], v[236:237], v[156:157]
	s_set_vgpr_msb 64                       ;  msbs: dst=1 src0=0 src1=0 src2=0
	v_fmac_f64_e32 v[22:23] /*v[278:279]*/, v[224:225], v[152:153]
	s_set_vgpr_msb 0                        ;  msbs: dst=0 src0=0 src1=0 src2=0
	v_fmac_f64_e32 v[182:183], v[218:219], v[156:157]
	v_fmac_f64_e32 v[180:181], v[238:239], v[152:153]
	s_set_vgpr_msb 64                       ;  msbs: dst=1 src0=0 src1=0 src2=0
	v_fmac_f64_e32 v[24:25] /*v[280:281]*/, v[208:209], v[152:153]
	v_fmac_f64_e32 v[26:27] /*v[282:283]*/, v[202:203], v[156:157]
	s_set_vgpr_msb 0                        ;  msbs: dst=0 src0=0 src1=0 src2=0
	v_fmac_f64_e32 v[178:179], v[250:251], v[160:161]
	s_set_vgpr_msb 64                       ;  msbs: dst=1 src0=0 src1=0 src2=0
	v_fmac_f64_e32 v[22:23] /*v[278:279]*/, v[228:229], v[172:173]
	s_set_vgpr_msb 0                        ;  msbs: dst=0 src0=0 src1=0 src2=0
	v_fmac_f64_e32 v[182:183], v[226:227], v[160:161]
	v_fmac_f64_e32 v[180:181], v[252:253], v[172:173]
	s_set_vgpr_msb 64                       ;  msbs: dst=1 src0=0 src1=0 src2=0
	v_fmac_f64_e32 v[24:25] /*v[280:281]*/, v[212:213], v[172:173]
	v_fmac_f64_e32 v[26:27] /*v[282:283]*/, v[210:211], v[160:161]
	s_set_vgpr_msb 0                        ;  msbs: dst=0 src0=0 src1=0 src2=0
	v_fmac_f64_e32 v[178:179], v[254:255], v[164:165]
	s_set_vgpr_msb 64                       ;  msbs: dst=1 src0=0 src1=0 src2=0
	v_fmac_f64_e32 v[22:23] /*v[278:279]*/, v[232:233], v[170:171]
	s_set_vgpr_msb 0                        ;  msbs: dst=0 src0=0 src1=0 src2=0
	v_fmac_f64_e32 v[182:183], v[230:231], v[164:165]
	s_set_vgpr_msb 1                        ;  msbs: dst=0 src0=1 src1=0 src2=0
	v_fmac_f64_e32 v[180:181], v[0:1] /*v[256:257]*/, v[170:171]
	s_set_vgpr_msb 64                       ;  msbs: dst=1 src0=0 src1=0 src2=0
	v_fmac_f64_e32 v[24:25] /*v[280:281]*/, v[216:217], v[170:171]
	v_fmac_f64_e32 v[26:27] /*v[282:283]*/, v[214:215], v[164:165]
	s_set_vgpr_msb 0x41                     ;  msbs: dst=1 src0=1 src1=0 src2=0
	v_mul_f64_e32 v[32:33] /*v[288:289]*/, v[22:23] /*v[278:279]*/, v[178:179]
	s_set_vgpr_msb 0x45                     ;  msbs: dst=1 src0=1 src1=1 src2=0
	v_mul_f64_e32 v[46:47] /*v[302:303]*/, v[10:11] /*v[266:267]*/, v[22:23] /*v[278:279]*/
	s_set_vgpr_msb 0                        ;  msbs: dst=0 src0=0 src1=0 src2=0
	v_mul_f64_e32 v[168:169], v[182:183], v[180:181]
	s_set_vgpr_msb 0x41                     ;  msbs: dst=1 src0=1 src1=0 src2=0
	s_delay_alu instid0(VALU_DEP_4)
	v_mul_f64_e32 v[34:35] /*v[290:291]*/, v[26:27] /*v[282:283]*/, v[180:181]
	s_set_vgpr_msb 0x45                     ;  msbs: dst=1 src0=1 src1=1 src2=0
	v_mul_f64_e32 v[28:29] /*v[284:285]*/, v[26:27] /*v[282:283]*/, v[22:23] /*v[278:279]*/
	v_mul_f64_e32 v[48:49] /*v[304:305]*/, v[12:13] /*v[268:269]*/, v[26:27] /*v[282:283]*/
	s_set_vgpr_msb 5                        ;  msbs: dst=0 src0=1 src1=1 src2=0
	v_mul_f64_e32 v[174:175], v[10:11] /*v[266:267]*/, v[32:33] /*v[288:289]*/
	s_set_vgpr_msb 0x50                     ;  msbs: dst=1 src0=0 src1=0 src2=1
	v_fma_f64 v[32:33] /*v[288:289]*/, v[182:183], v[180:181], -v[32:33] /*v[288:289]*/
	s_set_vgpr_msb 0x55                     ;  msbs: dst=1 src0=1 src1=1 src2=1
	v_fma_f64 v[46:47] /*v[302:303]*/, v[12:13] /*v[268:269]*/, v[24:25] /*v[280:281]*/, -v[46:47] /*v[302:303]*/
	s_set_vgpr_msb 0x51                     ;  msbs: dst=1 src0=1 src1=0 src2=1
	s_delay_alu instid0(VALU_DEP_4) | instskip(SKIP_1) | instid1(VALU_DEP_4)
	v_fma_f64 v[48:49] /*v[304:305]*/, v[10:11] /*v[266:267]*/, v[182:183], -v[48:49] /*v[304:305]*/
	s_set_vgpr_msb 1                        ;  msbs: dst=0 src0=1 src1=0 src2=0
	v_fma_f64 v[168:169], v[10:11] /*v[266:267]*/, v[168:169], -v[174:175]
	v_mul_f64_e32 v[174:175], v[24:25] /*v[280:281]*/, v[178:179]
	s_delay_alu instid0(VALU_DEP_1) | instskip(SKIP_2) | instid1(VALU_DEP_2)
	v_fmac_f64_e32 v[168:169], v[12:13] /*v[268:269]*/, v[174:175]
	v_mul_f64_e32 v[174:175], v[24:25] /*v[280:281]*/, v[182:183]
	s_set_vgpr_msb 5                        ;  msbs: dst=0 src0=1 src1=1 src2=0
	v_fma_f64 v[168:169], -v[12:13] /*v[268:269]*/, v[34:35] /*v[290:291]*/, v[168:169]
	s_set_vgpr_msb 0x51                     ;  msbs: dst=1 src0=1 src1=0 src2=1
	v_fma_f64 v[34:35] /*v[290:291]*/, v[24:25] /*v[280:281]*/, v[178:179], -v[34:35] /*v[290:291]*/
	s_set_vgpr_msb 1                        ;  msbs: dst=0 src0=1 src1=0 src2=0
	s_delay_alu instid0(VALU_DEP_2) | instskip(SKIP_2) | instid1(VALU_DEP_2)
	v_fma_f64 v[168:169], -v[14:15] /*v[270:271]*/, v[174:175], v[168:169]
	s_set_vgpr_msb 5                        ;  msbs: dst=0 src0=1 src1=1 src2=0
	v_fma_f64 v[174:175], v[26:27] /*v[282:283]*/, v[22:23] /*v[278:279]*/, -v[174:175]
	v_fmac_f64_e32 v[168:169], v[14:15] /*v[270:271]*/, v[28:29] /*v[284:285]*/
	s_set_vgpr_msb 64                       ;  msbs: dst=1 src0=0 src1=0 src2=0
	s_delay_alu instid0(VALU_DEP_1) | instskip(SKIP_1) | instid1(VALU_DEP_1)
	v_add_f64_e32 v[36:37] /*v[292:293]*/, 0x358dee7a4ad4b81f, v[168:169]
	s_set_vgpr_msb 0x55                     ;  msbs: dst=1 src0=1 src1=1 src2=1
	v_div_scale_f64 v[28:29] /*v[284:285]*/, null, v[36:37] /*v[292:293]*/, v[36:37] /*v[292:293]*/, 1.0
	s_delay_alu instid0(VALU_DEP_1) | instskip(SKIP_1) | instid1(TRANS32_DEP_1)
	v_rcp_f64_e32 v[30:31] /*v[286:287]*/, v[28:29] /*v[284:285]*/
	v_nop
	v_fma_f64 v[38:39] /*v[294:295]*/, -v[28:29] /*v[284:285]*/, v[30:31] /*v[286:287]*/, 1.0
	s_delay_alu instid0(VALU_DEP_1) | instskip(NEXT) | instid1(VALU_DEP_1)
	v_fmac_f64_e32 v[30:31] /*v[286:287]*/, v[30:31] /*v[286:287]*/, v[38:39] /*v[294:295]*/
	v_fma_f64 v[38:39] /*v[294:295]*/, -v[28:29] /*v[284:285]*/, v[30:31] /*v[286:287]*/, 1.0
	s_delay_alu instid0(VALU_DEP_1) | instskip(SKIP_1) | instid1(VALU_DEP_1)
	v_fmac_f64_e32 v[30:31] /*v[286:287]*/, v[30:31] /*v[286:287]*/, v[38:39] /*v[294:295]*/
	v_div_scale_f64 v[38:39] /*v[294:295]*/, vcc_lo, 1.0, v[36:37] /*v[292:293]*/, 1.0
	v_mul_f64_e32 v[40:41] /*v[296:297]*/, v[38:39] /*v[294:295]*/, v[30:31] /*v[286:287]*/
	s_delay_alu instid0(VALU_DEP_1) | instskip(NEXT) | instid1(VALU_DEP_1)
	v_fma_f64 v[28:29] /*v[284:285]*/, -v[28:29] /*v[284:285]*/, v[40:41] /*v[296:297]*/, v[38:39] /*v[294:295]*/
	v_div_fmas_f64 v[38:39] /*v[294:295]*/, v[28:29] /*v[284:285]*/, v[30:31] /*v[286:287]*/, v[40:41] /*v[296:297]*/
	s_set_vgpr_msb 64                       ;  msbs: dst=1 src0=0 src1=0 src2=0
	v_add_f64_e64 v[28:29] /*v[284:285]*/, |v[168:169]|, s[0:1]
	s_set_vgpr_msb 0x45                     ;  msbs: dst=1 src0=1 src1=1 src2=0
	s_delay_alu instid0(VALU_DEP_2) | instskip(NEXT) | instid1(VALU_DEP_2)
	v_div_fixup_f64 v[36:37] /*v[292:293]*/, v[38:39] /*v[294:295]*/, v[36:37] /*v[292:293]*/, 1.0
	v_div_scale_f64 v[30:31] /*v[286:287]*/, null, v[28:29] /*v[284:285]*/, v[28:29] /*v[284:285]*/, 1.0
	s_set_vgpr_msb 0x41                     ;  msbs: dst=1 src0=1 src1=0 src2=0
	v_mul_f64_e32 v[38:39] /*v[294:295]*/, v[12:13] /*v[268:269]*/, v[180:181]
	s_set_vgpr_msb 0x55                     ;  msbs: dst=1 src0=1 src1=1 src2=1
	v_mul_f64_e32 v[64:65] /*v[320:321]*/, v[32:33] /*v[288:289]*/, v[36:37] /*v[292:293]*/
	v_rcp_f64_e32 v[40:41] /*v[296:297]*/, v[30:31] /*v[286:287]*/
	v_mul_f64_e32 v[66:67] /*v[322:323]*/, v[34:35] /*v[290:291]*/, v[36:37] /*v[292:293]*/
	s_delay_alu instid0(VALU_DEP_3) | instskip(SKIP_4) | instid1(VALU_DEP_3)
	v_fma_f64 v[38:39] /*v[294:295]*/, v[14:15] /*v[270:271]*/, v[22:23] /*v[278:279]*/, -v[38:39] /*v[294:295]*/
	v_mul_f64_e32 v[46:47] /*v[302:303]*/, v[46:47] /*v[302:303]*/, v[36:37] /*v[292:293]*/
	v_mul_f64_e32 v[56:57] /*v[312:313]*/, v[48:49] /*v[304:305]*/, v[36:37] /*v[292:293]*/
	s_set_vgpr_msb 0x44                     ;  msbs: dst=1 src0=0 src1=1 src2=0
	v_mul_f64_e32 v[68:69] /*v[324:325]*/, v[174:175], v[36:37] /*v[292:293]*/
	v_mul_f64_e32 v[86:87] /*v[342:343]*/, 0, v[46:47] /*v[302:303]*/
	s_delay_alu instid0(VALU_DEP_3) | instskip(SKIP_1) | instid1(TRANS32_DEP_1)
	v_mul_f64_e32 v[76:77] /*v[332:333]*/, 0, v[56:57] /*v[312:313]*/
	s_set_vgpr_msb 0x45                     ;  msbs: dst=1 src0=1 src1=1 src2=0
	v_fma_f64 v[42:43] /*v[298:299]*/, -v[30:31] /*v[286:287]*/, v[40:41] /*v[296:297]*/, 1.0
	s_set_vgpr_msb 0x54                     ;  msbs: dst=1 src0=0 src1=1 src2=1
	s_delay_alu instid0(VALU_DEP_3) | instskip(NEXT) | instid1(VALU_DEP_3)
	v_fma_f64 v[92:93] /*v[348:349]*/, v[170:171], v[56:57] /*v[312:313]*/, v[86:87] /*v[342:343]*/
	v_fma_f64 v[80:81] /*v[336:337]*/, v[160:161], v[46:47] /*v[302:303]*/, v[76:77] /*v[332:333]*/
	s_set_vgpr_msb 0x55                     ;  msbs: dst=1 src0=1 src1=1 src2=1
	s_delay_alu instid0(VALU_DEP_3) | instskip(NEXT) | instid1(VALU_DEP_3)
	v_fmac_f64_e32 v[40:41] /*v[296:297]*/, v[40:41] /*v[296:297]*/, v[42:43] /*v[298:299]*/
	v_fmac_f64_e32 v[92:93] /*v[348:349]*/, 0, v[68:69] /*v[324:325]*/
	s_delay_alu instid0(VALU_DEP_3) | instskip(NEXT) | instid1(VALU_DEP_3)
	v_fmac_f64_e32 v[80:81] /*v[336:337]*/, 0, v[68:69] /*v[324:325]*/
	v_fma_f64 v[42:43] /*v[298:299]*/, -v[30:31] /*v[286:287]*/, v[40:41] /*v[296:297]*/, 1.0
	s_delay_alu instid0(VALU_DEP_1) | instskip(SKIP_1) | instid1(VALU_DEP_1)
	v_fmac_f64_e32 v[40:41] /*v[296:297]*/, v[40:41] /*v[296:297]*/, v[42:43] /*v[298:299]*/
	v_div_scale_f64 v[42:43] /*v[298:299]*/, vcc_lo, 1.0, v[28:29] /*v[284:285]*/, 1.0
	v_mul_f64_e32 v[44:45] /*v[300:301]*/, v[42:43] /*v[298:299]*/, v[40:41] /*v[296:297]*/
	s_delay_alu instid0(VALU_DEP_1) | instskip(SKIP_1) | instid1(VALU_DEP_2)
	v_fma_f64 v[30:31] /*v[286:287]*/, -v[30:31] /*v[286:287]*/, v[44:45] /*v[300:301]*/, v[42:43] /*v[298:299]*/
	v_mul_f64_e32 v[42:43] /*v[298:299]*/, v[14:15] /*v[270:271]*/, v[24:25] /*v[280:281]*/
	v_div_fmas_f64 v[30:31] /*v[286:287]*/, v[30:31] /*v[286:287]*/, v[40:41] /*v[296:297]*/, v[44:45] /*v[300:301]*/
	scratch_load_b64 v[40:41] /*v[296:297]*/, off, s12
	s_set_vgpr_msb 0x51                     ;  msbs: dst=1 src0=1 src1=0 src2=1
	v_mul_f64_e32 v[44:45] /*v[300:301]*/, v[10:11] /*v[266:267]*/, v[178:179]
	v_fma_f64 v[42:43] /*v[298:299]*/, v[10:11] /*v[266:267]*/, v[180:181], -v[42:43] /*v[298:299]*/
	s_wait_xcnt 0x0
	s_mov_b32 s12, 8
	s_set_vgpr_msb 0x55                     ;  msbs: dst=1 src0=1 src1=1 src2=1
	s_delay_alu instid0(VALU_DEP_2) | instskip(NEXT) | instid1(VALU_DEP_2)
	v_fma_f64 v[44:45] /*v[300:301]*/, v[14:15] /*v[270:271]*/, v[26:27] /*v[282:283]*/, -v[44:45] /*v[300:301]*/
	v_mul_f64_e32 v[50:51] /*v[306:307]*/, v[42:43] /*v[298:299]*/, v[36:37] /*v[292:293]*/
	s_delay_alu instid0(VALU_DEP_2) | instskip(SKIP_1) | instid1(VALU_DEP_3)
	v_mul_f64_e32 v[52:53] /*v[308:309]*/, v[44:45] /*v[300:301]*/, v[36:37] /*v[292:293]*/
	v_mul_f64_e32 v[44:45] /*v[300:301]*/, v[38:39] /*v[294:295]*/, v[36:37] /*v[292:293]*/
	v_mul_f64_e32 v[82:83] /*v[338:339]*/, 0, v[50:51] /*v[306:307]*/
	s_delay_alu instid0(VALU_DEP_3) | instskip(NEXT) | instid1(VALU_DEP_3)
	v_mul_f64_e32 v[70:71] /*v[326:327]*/, 0, v[52:53] /*v[308:309]*/
	v_mul_f64_e32 v[84:85] /*v[340:341]*/, 0, v[44:45] /*v[300:301]*/
	s_set_vgpr_msb 0x54                     ;  msbs: dst=1 src0=0 src1=1 src2=1
	s_delay_alu instid0(VALU_DEP_3) | instskip(NEXT) | instid1(VALU_DEP_3)
	v_fma_f64 v[88:89] /*v[344:345]*/, v[170:171], v[52:53] /*v[308:309]*/, v[82:83] /*v[338:339]*/
	v_fma_f64 v[32:33] /*v[288:289]*/, v[148:149], v[50:51] /*v[306:307]*/, v[70:71] /*v[326:327]*/
	;; [unrolled: 1-line block ×3, first 2 shown]
	s_delay_alu instid0(VALU_DEP_3) | instskip(NEXT) | instid1(VALU_DEP_3)
	v_fmac_f64_e32 v[88:89] /*v[344:345]*/, 0, v[66:67] /*v[322:323]*/
	v_fmac_f64_e32 v[32:33] /*v[288:289]*/, 0, v[66:67] /*v[322:323]*/
	s_delay_alu instid0(VALU_DEP_3) | instskip(SKIP_4) | instid1(VALU_DEP_1)
	v_fmac_f64_e32 v[72:73] /*v[328:329]*/, 0, v[66:67] /*v[322:323]*/
	s_wait_loadcnt 0x0
	s_set_vgpr_msb 0x45                     ;  msbs: dst=1 src0=1 src1=1 src2=0
	v_mul_f64_e32 v[40:41] /*v[296:297]*/, v[20:21] /*v[276:277]*/, v[40:41] /*v[296:297]*/
	s_set_vgpr_msb 1                        ;  msbs: dst=0 src0=1 src1=0 src2=0
	v_mul_f64_e64 v[168:169], v[40:41] /*v[296:297]*/, |v[168:169]|
	s_set_vgpr_msb 0x51                     ;  msbs: dst=1 src0=1 src1=0 src2=1
	v_mul_f64_e32 v[40:41] /*v[296:297]*/, v[14:15] /*v[270:271]*/, v[182:183]
	s_delay_alu instid0(VALU_DEP_1) | instskip(SKIP_1) | instid1(VALU_DEP_1)
	v_fma_f64 v[40:41] /*v[296:297]*/, v[12:13] /*v[268:269]*/, v[178:179], -v[40:41] /*v[296:297]*/
	s_set_vgpr_msb 0x45                     ;  msbs: dst=1 src0=1 src1=1 src2=0
	v_mul_f64_e32 v[54:55] /*v[310:311]*/, v[40:41] /*v[296:297]*/, v[36:37] /*v[292:293]*/
	s_set_vgpr_msb 0x54                     ;  msbs: dst=1 src0=0 src1=1 src2=1
	v_fma_f64 v[36:37] /*v[292:293]*/, v[156:157], v[50:51] /*v[306:307]*/, v[70:71] /*v[326:327]*/
	v_fmac_f64_e32 v[70:71] /*v[326:327]*/, v[164:165], v[50:51] /*v[306:307]*/
	s_delay_alu instid0(VALU_DEP_3) | instskip(NEXT) | instid1(VALU_DEP_3)
	v_mul_f64_e32 v[74:75] /*v[330:331]*/, 0, v[54:55] /*v[310:311]*/
	v_fmac_f64_e32 v[36:37] /*v[292:293]*/, 0, v[66:67] /*v[322:323]*/
	s_delay_alu instid0(VALU_DEP_3) | instskip(SKIP_1) | instid1(VALU_DEP_4)
	v_fmac_f64_e32 v[70:71] /*v[326:327]*/, 0, v[66:67] /*v[322:323]*/
	v_fma_f64 v[90:91] /*v[346:347]*/, v[170:171], v[54:55] /*v[310:311]*/, v[84:85] /*v[340:341]*/
	v_fma_f64 v[38:39] /*v[294:295]*/, v[156:157], v[44:45] /*v[300:301]*/, v[74:75] /*v[330:331]*/
	;; [unrolled: 1-line block ×4, first 2 shown]
	v_fmac_f64_e32 v[74:75] /*v[330:331]*/, v[164:165], v[44:45] /*v[300:301]*/
	s_set_vgpr_msb 20                       ;  msbs: dst=0 src0=0 src1=1 src2=1
	v_fma_f64 v[156:157], v[156:157], v[46:47] /*v[302:303]*/, v[76:77] /*v[332:333]*/
	v_fma_f64 v[148:149], v[148:149], v[46:47] /*v[302:303]*/, v[76:77] /*v[332:333]*/
	s_set_vgpr_msb 0x44                     ;  msbs: dst=1 src0=0 src1=1 src2=0
	v_fmac_f64_e32 v[76:77] /*v[332:333]*/, v[164:165], v[46:47] /*v[302:303]*/
	s_set_vgpr_msb 5                        ;  msbs: dst=0 src0=1 src1=1 src2=0
	v_mul_f64_e32 v[160:161], v[36:37] /*v[292:293]*/, v[70:71] /*v[326:327]*/
	s_set_vgpr_msb 0x44                     ;  msbs: dst=1 src0=0 src1=1 src2=0
	v_fmac_f64_e32 v[90:91] /*v[346:347]*/, 0, v[64:65] /*v[320:321]*/
	v_fmac_f64_e32 v[38:39] /*v[294:295]*/, 0, v[64:65] /*v[320:321]*/
	;; [unrolled: 1-line block ×5, first 2 shown]
	s_set_vgpr_msb 4                        ;  msbs: dst=0 src0=0 src1=1 src2=0
	v_fmac_f64_e32 v[156:157], 0, v[68:69] /*v[324:325]*/
	v_fmac_f64_e32 v[148:149], 0, v[68:69] /*v[324:325]*/
	s_set_vgpr_msb 0x44                     ;  msbs: dst=1 src0=0 src1=1 src2=0
	v_fmac_f64_e32 v[76:77] /*v[332:333]*/, 0, v[68:69] /*v[324:325]*/
	s_set_vgpr_msb 5                        ;  msbs: dst=0 src0=1 src1=1 src2=0
	s_delay_alu instid0(VALU_DEP_4) | instskip(SKIP_1) | instid1(VALU_DEP_1)
	v_fmac_f64_e32 v[160:161], v[38:39] /*v[294:295]*/, v[74:75] /*v[330:331]*/
	s_set_vgpr_msb 4                        ;  msbs: dst=0 src0=0 src1=1 src2=0
	v_fmac_f64_e32 v[160:161], v[156:157], v[76:77] /*v[332:333]*/
	s_set_vgpr_msb 0                        ;  msbs: dst=0 src0=0 src1=0 src2=0
	s_delay_alu instid0(VALU_DEP_1) | instskip(SKIP_3) | instid1(VALU_DEP_2)
	v_fmac_f64_e32 v[142:143], v[168:169], v[160:161]
	s_set_vgpr_msb 5                        ;  msbs: dst=0 src0=1 src1=1 src2=0
	v_mul_f64_e32 v[160:161], v[32:33] /*v[288:289]*/, v[70:71] /*v[326:327]*/
	s_set_vgpr_msb 64                       ;  msbs: dst=1 src0=0 src1=0 src2=0
	v_mov_b32_e32 v40 /*v296*/, v142
	s_set_vgpr_msb 5                        ;  msbs: dst=0 src0=1 src1=1 src2=0
	s_delay_alu instid0(VALU_DEP_2) | instskip(SKIP_1) | instid1(VALU_DEP_4)
	v_fmac_f64_e32 v[160:161], v[34:35] /*v[290:291]*/, v[74:75] /*v[330:331]*/
	s_set_vgpr_msb 64                       ;  msbs: dst=1 src0=0 src1=0 src2=0
	v_mov_b32_e32 v41 /*v297*/, v143
	s_set_vgpr_msb 4                        ;  msbs: dst=0 src0=0 src1=1 src2=0
	s_delay_alu instid0(VALU_DEP_2) | instskip(SKIP_1) | instid1(VALU_DEP_1)
	v_fmac_f64_e32 v[160:161], v[148:149], v[76:77] /*v[332:333]*/
	s_set_vgpr_msb 0                        ;  msbs: dst=0 src0=0 src1=0 src2=0
	v_fmac_f64_e32 v[122:123], v[168:169], v[160:161]
	s_set_vgpr_msb 5                        ;  msbs: dst=0 src0=1 src1=1 src2=0
	v_mul_f64_e32 v[160:161], v[72:73] /*v[328:329]*/, v[70:71] /*v[326:327]*/
	s_set_vgpr_msb 64                       ;  msbs: dst=1 src0=0 src1=0 src2=0
	s_delay_alu instid0(VALU_DEP_2) | instskip(SKIP_1) | instid1(VALU_DEP_2)
	v_mov_b32_e32 v42 /*v298*/, v122
	s_set_vgpr_msb 5                        ;  msbs: dst=0 src0=1 src1=1 src2=0
	v_fmac_f64_e32 v[160:161], v[78:79] /*v[334:335]*/, v[74:75] /*v[330:331]*/
	s_set_vgpr_msb 64                       ;  msbs: dst=1 src0=0 src1=0 src2=0
	s_delay_alu instid0(VALU_DEP_4) | instskip(SKIP_4) | instid1(VALU_DEP_1)
	v_mov_b32_e32 v43 /*v299*/, v123
	s_set_vgpr_msb 5                        ;  msbs: dst=0 src0=1 src1=1 src2=0
	scratch_store_b128 off, v[40:43] /*v[296:299]*/, off offset:304
	v_fmac_f64_e32 v[160:161], v[80:81] /*v[336:337]*/, v[76:77] /*v[332:333]*/
	s_set_vgpr_msb 0                        ;  msbs: dst=0 src0=0 src1=0 src2=0
	v_fmac_f64_e32 v[102:103], v[168:169], v[160:161]
	s_set_vgpr_msb 5                        ;  msbs: dst=0 src0=1 src1=1 src2=0
	v_mul_f64_e32 v[160:161], v[70:71] /*v[326:327]*/, v[70:71] /*v[326:327]*/
	s_delay_alu instid0(VALU_DEP_1) | instskip(NEXT) | instid1(VALU_DEP_1)
	v_fmac_f64_e32 v[160:161], v[74:75] /*v[330:331]*/, v[74:75] /*v[330:331]*/
	v_fmac_f64_e32 v[160:161], v[76:77] /*v[332:333]*/, v[76:77] /*v[332:333]*/
	s_set_vgpr_msb 0                        ;  msbs: dst=0 src0=0 src1=0 src2=0
	s_delay_alu instid0(VALU_DEP_1)
	v_fmac_f64_e32 v[162:163], v[168:169], v[160:161]
	v_mov_b32_e32 v161, v103
	s_wait_xcnt 0x0
	s_set_vgpr_msb 0x54                     ;  msbs: dst=1 src0=0 src1=1 src2=1
	v_fma_f64 v[42:43] /*v[298:299]*/, v[152:153], v[52:53] /*v[308:309]*/, v[82:83] /*v[338:339]*/
	v_fma_f64 v[40:41] /*v[296:297]*/, v[152:153], v[54:55] /*v[310:311]*/, v[84:85] /*v[340:341]*/
	s_set_vgpr_msb 20                       ;  msbs: dst=0 src0=0 src1=1 src2=1
	v_dual_fma_f64 v[164:165], v[152:153], v[56:57] /*v[312:313]*/, v[86:87] /*v[342:343]*/ :: v_dual_mov_b32 v160, v102
	s_set_vgpr_msb 0x44                     ;  msbs: dst=1 src0=0 src1=1 src2=0
	s_delay_alu instid0(VALU_DEP_3) | instskip(NEXT) | instid1(VALU_DEP_3)
	v_fmac_f64_e32 v[42:43] /*v[298:299]*/, 0, v[66:67] /*v[322:323]*/
	v_fmac_f64_e32 v[40:41] /*v[296:297]*/, 0, v[64:65] /*v[320:321]*/
	s_set_vgpr_msb 5                        ;  msbs: dst=0 src0=1 src1=1 src2=0
	s_delay_alu instid0(VALU_DEP_3) | instskip(NEXT) | instid1(VALU_DEP_3)
	v_fmac_f64_e32 v[164:165], 0, v[68:69] /*v[324:325]*/
	v_mul_f64_e32 v[152:153], v[36:37] /*v[292:293]*/, v[42:43] /*v[298:299]*/
	s_delay_alu instid0(VALU_DEP_1) | instskip(SKIP_1) | instid1(VALU_DEP_1)
	v_fmac_f64_e32 v[152:153], v[38:39] /*v[294:295]*/, v[40:41] /*v[296:297]*/
	s_set_vgpr_msb 0                        ;  msbs: dst=0 src0=0 src1=0 src2=0
	v_fmac_f64_e32 v[152:153], v[156:157], v[164:165]
	s_delay_alu instid0(VALU_DEP_1) | instskip(SKIP_3) | instid1(VALU_DEP_2)
	v_fmac_f64_e32 v[138:139], v[168:169], v[152:153]
	s_set_vgpr_msb 5                        ;  msbs: dst=0 src0=1 src1=1 src2=0
	v_mul_f64_e32 v[152:153], v[32:33] /*v[288:289]*/, v[42:43] /*v[298:299]*/
	s_set_vgpr_msb 64                       ;  msbs: dst=1 src0=0 src1=0 src2=0
	v_mov_b32_e32 v44 /*v300*/, v138
	s_set_vgpr_msb 5                        ;  msbs: dst=0 src0=1 src1=1 src2=0
	s_delay_alu instid0(VALU_DEP_2) | instskip(SKIP_1) | instid1(VALU_DEP_4)
	v_fmac_f64_e32 v[152:153], v[34:35] /*v[290:291]*/, v[40:41] /*v[296:297]*/
	s_set_vgpr_msb 64                       ;  msbs: dst=1 src0=0 src1=0 src2=0
	v_mov_b32_e32 v45 /*v301*/, v139
	s_set_vgpr_msb 0                        ;  msbs: dst=0 src0=0 src1=0 src2=0
	s_delay_alu instid0(VALU_DEP_2) | instskip(NEXT) | instid1(VALU_DEP_1)
	v_fmac_f64_e32 v[152:153], v[148:149], v[164:165]
	v_fmac_f64_e32 v[118:119], v[168:169], v[152:153]
	s_set_vgpr_msb 5                        ;  msbs: dst=0 src0=1 src1=1 src2=0
	v_mul_f64_e32 v[152:153], v[72:73] /*v[328:329]*/, v[42:43] /*v[298:299]*/
	s_set_vgpr_msb 64                       ;  msbs: dst=1 src0=0 src1=0 src2=0
	s_delay_alu instid0(VALU_DEP_2) | instskip(SKIP_1) | instid1(VALU_DEP_2)
	v_mov_b32_e32 v46 /*v302*/, v118
	s_set_vgpr_msb 5                        ;  msbs: dst=0 src0=1 src1=1 src2=0
	v_fmac_f64_e32 v[152:153], v[78:79] /*v[334:335]*/, v[40:41] /*v[296:297]*/
	s_set_vgpr_msb 64                       ;  msbs: dst=1 src0=0 src1=0 src2=0
	s_delay_alu instid0(VALU_DEP_4) | instskip(SKIP_1) | instid1(VALU_DEP_2)
	v_mov_b32_e32 v47 /*v303*/, v119
	s_set_vgpr_msb 1                        ;  msbs: dst=0 src0=1 src1=0 src2=0
	v_fmac_f64_e32 v[152:153], v[80:81] /*v[336:337]*/, v[164:165]
	s_set_vgpr_msb 0                        ;  msbs: dst=0 src0=0 src1=0 src2=0
	s_delay_alu instid0(VALU_DEP_1) | instskip(SKIP_3) | instid1(VALU_DEP_2)
	v_fmac_f64_e32 v[98:99], v[168:169], v[152:153]
	s_set_vgpr_msb 5                        ;  msbs: dst=0 src0=1 src1=1 src2=0
	v_mul_f64_e32 v[152:153], v[70:71] /*v[326:327]*/, v[42:43] /*v[298:299]*/
	s_set_vgpr_msb 64                       ;  msbs: dst=1 src0=0 src1=0 src2=0
	v_mov_b32_e32 v48 /*v304*/, v98
	s_set_vgpr_msb 5                        ;  msbs: dst=0 src0=1 src1=1 src2=0
	s_delay_alu instid0(VALU_DEP_2) | instskip(SKIP_1) | instid1(VALU_DEP_4)
	v_fmac_f64_e32 v[152:153], v[74:75] /*v[330:331]*/, v[40:41] /*v[296:297]*/
	s_set_vgpr_msb 64                       ;  msbs: dst=1 src0=0 src1=0 src2=0
	v_mov_b32_e32 v49 /*v305*/, v99
	s_set_vgpr_msb 1                        ;  msbs: dst=0 src0=1 src1=0 src2=0
	s_delay_alu instid0(VALU_DEP_2) | instskip(SKIP_1) | instid1(VALU_DEP_1)
	v_fmac_f64_e32 v[152:153], v[76:77] /*v[332:333]*/, v[164:165]
	s_set_vgpr_msb 0                        ;  msbs: dst=0 src0=0 src1=0 src2=0
	v_fmac_f64_e32 v[82:83], v[168:169], v[152:153]
	s_set_vgpr_msb 5                        ;  msbs: dst=0 src0=1 src1=1 src2=0
	v_mul_f64_e32 v[152:153], v[36:37] /*v[292:293]*/, v[88:89] /*v[344:345]*/
	s_set_vgpr_msb 64                       ;  msbs: dst=1 src0=0 src1=0 src2=0
	s_delay_alu instid0(VALU_DEP_2) | instskip(SKIP_1) | instid1(VALU_DEP_2)
	v_mov_b32_e32 v50 /*v306*/, v82
	s_set_vgpr_msb 5                        ;  msbs: dst=0 src0=1 src1=1 src2=0
	v_fmac_f64_e32 v[152:153], v[38:39] /*v[294:295]*/, v[90:91] /*v[346:347]*/
	s_set_vgpr_msb 64                       ;  msbs: dst=1 src0=0 src1=0 src2=0
	s_delay_alu instid0(VALU_DEP_4)
	v_mov_b32_e32 v51 /*v307*/, v83
	s_set_vgpr_msb 4                        ;  msbs: dst=0 src0=0 src1=1 src2=0
	s_clause 0x1
	scratch_store_b128 off, v[44:47] /*v[300:303]*/, off offset:496
	scratch_store_b128 off, v[48:51] /*v[304:307]*/, off offset:512
	v_fmac_f64_e32 v[152:153], v[156:157], v[92:93] /*v[348:349]*/
	s_set_vgpr_msb 0                        ;  msbs: dst=0 src0=0 src1=0 src2=0
	s_delay_alu instid0(VALU_DEP_1) | instskip(SKIP_4) | instid1(VALU_DEP_2)
	v_fmac_f64_e32 v[134:135], v[168:169], v[152:153]
	s_set_vgpr_msb 5                        ;  msbs: dst=0 src0=1 src1=1 src2=0
	v_mul_f64_e32 v[152:153], v[32:33] /*v[288:289]*/, v[88:89] /*v[344:345]*/
	s_wait_xcnt 0x1
	s_set_vgpr_msb 64                       ;  msbs: dst=1 src0=0 src1=0 src2=0
	v_mov_b32_e32 v44 /*v300*/, v134
	s_set_vgpr_msb 5                        ;  msbs: dst=0 src0=1 src1=1 src2=0
	s_delay_alu instid0(VALU_DEP_2) | instskip(SKIP_1) | instid1(VALU_DEP_4)
	v_fmac_f64_e32 v[152:153], v[34:35] /*v[290:291]*/, v[90:91] /*v[346:347]*/
	s_set_vgpr_msb 0x54                     ;  msbs: dst=1 src0=0 src1=1 src2=1
	v_dual_fma_f64 v[94:95] /*v[350:351]*/, v[172:173], v[52:53] /*v[308:309]*/, v[82:83] /*v[338:339]*/ :: v_dual_mov_b32 v45 /*v301*/, v135
	v_fma_f64 v[96:97] /*v[352:353]*/, v[172:173], v[54:55] /*v[310:311]*/, v[84:85] /*v[340:341]*/
	s_set_vgpr_msb 4                        ;  msbs: dst=0 src0=0 src1=1 src2=0
	s_delay_alu instid0(VALU_DEP_3) | instskip(SKIP_1) | instid1(VALU_DEP_1)
	v_fmac_f64_e32 v[152:153], v[148:149], v[92:93] /*v[348:349]*/
	s_set_vgpr_msb 0                        ;  msbs: dst=0 src0=0 src1=0 src2=0
	v_fmac_f64_e32 v[114:115], v[168:169], v[152:153]
	s_set_vgpr_msb 5                        ;  msbs: dst=0 src0=1 src1=1 src2=0
	v_mul_f64_e32 v[152:153], v[72:73] /*v[328:329]*/, v[88:89] /*v[344:345]*/
	s_set_vgpr_msb 64                       ;  msbs: dst=1 src0=0 src1=0 src2=0
	s_delay_alu instid0(VALU_DEP_2) | instskip(SKIP_1) | instid1(VALU_DEP_2)
	v_mov_b32_e32 v46 /*v302*/, v114
	s_set_vgpr_msb 5                        ;  msbs: dst=0 src0=1 src1=1 src2=0
	v_fmac_f64_e32 v[152:153], v[78:79] /*v[334:335]*/, v[90:91] /*v[346:347]*/
	s_set_vgpr_msb 64                       ;  msbs: dst=1 src0=0 src1=0 src2=0
	s_delay_alu instid0(VALU_DEP_4)
	v_mov_b32_e32 v47 /*v303*/, v115
	s_set_vgpr_msb 20                       ;  msbs: dst=0 src0=0 src1=1 src2=1
	v_fma_f64 v[170:171], v[0:1], v[56:57] /*v[312:313]*/, v[86:87] /*v[342:343]*/
	s_set_vgpr_msb 0x54                     ;  msbs: dst=1 src0=0 src1=1 src2=1
	v_fma_f64 v[98:99] /*v[354:355]*/, v[172:173], v[56:57] /*v[312:313]*/, v[86:87] /*v[342:343]*/
	v_fmac_f64_e32 v[86:87] /*v[342:343]*/, 0, v[56:57] /*v[312:313]*/
	s_set_vgpr_msb 21                       ;  msbs: dst=0 src0=1 src1=1 src2=1
	v_fmac_f64_e32 v[152:153], v[80:81] /*v[336:337]*/, v[92:93] /*v[348:349]*/
	s_delay_alu instid0(VALU_DEP_4) | instskip(NEXT) | instid1(VALU_DEP_3)
	v_fmac_f64_e32 v[170:171], 0, v[68:69] /*v[324:325]*/
	v_fma_f64 v[172:173], v[6:7] /*v[262:263]*/, v[68:69] /*v[324:325]*/, v[86:87] /*v[342:343]*/
	v_fma_f64 v[174:175], v[8:9] /*v[264:265]*/, v[68:69] /*v[324:325]*/, v[86:87] /*v[342:343]*/
	s_set_vgpr_msb 0x55                     ;  msbs: dst=1 src0=1 src1=1 src2=1
	v_fma_f64 v[104:105] /*v[360:361]*/, v[18:19] /*v[274:275]*/, v[68:69] /*v[324:325]*/, v[86:87] /*v[342:343]*/
	v_fmac_f64_e32 v[86:87] /*v[342:343]*/, v[16:17] /*v[272:273]*/, v[68:69] /*v[324:325]*/
	s_set_vgpr_msb 0                        ;  msbs: dst=0 src0=0 src1=0 src2=0
	v_fmac_f64_e32 v[94:95], v[168:169], v[152:153]
	s_set_vgpr_msb 5                        ;  msbs: dst=0 src0=1 src1=1 src2=0
	v_mul_f64_e32 v[152:153], v[70:71] /*v[326:327]*/, v[88:89] /*v[344:345]*/
	s_wait_xcnt 0x0
	s_set_vgpr_msb 64                       ;  msbs: dst=1 src0=0 src1=0 src2=0
	s_delay_alu instid0(VALU_DEP_2) | instskip(SKIP_1) | instid1(VALU_DEP_2)
	v_mov_b32_e32 v48 /*v304*/, v94
	s_set_vgpr_msb 5                        ;  msbs: dst=0 src0=1 src1=1 src2=0
	v_fmac_f64_e32 v[152:153], v[74:75] /*v[330:331]*/, v[90:91] /*v[346:347]*/
	s_delay_alu instid0(VALU_DEP_1) | instskip(SKIP_1) | instid1(VALU_DEP_1)
	v_fmac_f64_e32 v[152:153], v[76:77] /*v[332:333]*/, v[92:93] /*v[348:349]*/
	s_set_vgpr_msb 0                        ;  msbs: dst=0 src0=0 src1=0 src2=0
	v_fmac_f64_e32 v[78:79], v[168:169], v[152:153]
	s_set_vgpr_msb 64                       ;  msbs: dst=1 src0=0 src1=0 src2=0
	s_delay_alu instid0(VALU_DEP_1) | instskip(NEXT) | instid1(VALU_DEP_2)
	v_dual_mov_b32 v49 /*v305*/, v95 :: v_dual_mov_b32 v50 /*v306*/, v78
	v_mov_b32_e32 v51 /*v307*/, v79
	s_set_vgpr_msb 0x54                     ;  msbs: dst=1 src0=0 src1=1 src2=1
	s_clause 0x1
	scratch_store_b128 off, v[44:47] /*v[300:303]*/, off offset:688
	scratch_store_b128 off, v[48:51] /*v[304:307]*/, off offset:704
	s_wait_xcnt 0x0
	v_fma_f64 v[48:49] /*v[304:305]*/, v[0:1], v[52:53] /*v[308:309]*/, v[82:83] /*v[338:339]*/
	v_fmac_f64_e32 v[82:83] /*v[338:339]*/, 0, v[52:53] /*v[308:309]*/
	v_fma_f64 v[50:51] /*v[306:307]*/, v[0:1], v[54:55] /*v[310:311]*/, v[84:85] /*v[340:341]*/
	v_fmac_f64_e32 v[84:85] /*v[340:341]*/, 0, v[54:55] /*v[310:311]*/
	s_delay_alu instid0(VALU_DEP_4) | instskip(SKIP_1) | instid1(VALU_DEP_4)
	v_fmac_f64_e32 v[48:49] /*v[304:305]*/, 0, v[66:67] /*v[322:323]*/
	s_set_vgpr_msb 0x55                     ;  msbs: dst=1 src0=1 src1=1 src2=1
	v_fma_f64 v[46:47] /*v[302:303]*/, v[6:7] /*v[262:263]*/, v[66:67] /*v[322:323]*/, v[82:83] /*v[338:339]*/
	v_fma_f64 v[100:101] /*v[356:357]*/, v[18:19] /*v[274:275]*/, v[66:67] /*v[322:323]*/, v[82:83] /*v[338:339]*/
	s_delay_alu instid0(VALU_DEP_4) | instskip(SKIP_2) | instid1(VALU_DEP_4)
	v_fma_f64 v[44:45] /*v[300:301]*/, v[6:7] /*v[262:263]*/, v[64:65] /*v[320:321]*/, v[84:85] /*v[340:341]*/
	v_fma_f64 v[102:103] /*v[358:359]*/, v[18:19] /*v[274:275]*/, v[64:65] /*v[320:321]*/, v[84:85] /*v[340:341]*/
	s_set_vgpr_msb 5                        ;  msbs: dst=0 src0=1 src1=1 src2=0
	v_mul_f64_e32 v[0:1], v[36:37] /*v[292:293]*/, v[46:47] /*v[302:303]*/
	s_delay_alu instid0(VALU_DEP_1) | instskip(SKIP_1) | instid1(VALU_DEP_1)
	v_fmac_f64_e32 v[0:1], v[38:39] /*v[294:295]*/, v[44:45] /*v[300:301]*/
	s_set_vgpr_msb 0                        ;  msbs: dst=0 src0=0 src1=0 src2=0
	v_fmac_f64_e32 v[0:1], v[156:157], v[172:173]
	s_delay_alu instid0(VALU_DEP_1) | instskip(SKIP_3) | instid1(VALU_DEP_2)
	v_fmac_f64_e32 v[130:131], v[168:169], v[0:1]
	s_set_vgpr_msb 5                        ;  msbs: dst=0 src0=1 src1=1 src2=0
	v_mul_f64_e32 v[0:1], v[32:33] /*v[288:289]*/, v[46:47] /*v[302:303]*/
	s_set_vgpr_msb 64                       ;  msbs: dst=1 src0=0 src1=0 src2=0
	v_mov_b32_e32 v52 /*v308*/, v130
	s_set_vgpr_msb 5                        ;  msbs: dst=0 src0=1 src1=1 src2=0
	s_delay_alu instid0(VALU_DEP_2) | instskip(SKIP_1) | instid1(VALU_DEP_4)
	v_fmac_f64_e32 v[0:1], v[34:35] /*v[290:291]*/, v[44:45] /*v[300:301]*/
	s_set_vgpr_msb 0x44                     ;  msbs: dst=1 src0=0 src1=1 src2=0
	v_mov_b32_e32 v53 /*v309*/, v131
	v_fmac_f64_e32 v[50:51] /*v[306:307]*/, 0, v[64:65] /*v[320:321]*/
	v_fmac_f64_e32 v[94:95] /*v[350:351]*/, 0, v[66:67] /*v[322:323]*/
	s_set_vgpr_msb 0                        ;  msbs: dst=0 src0=0 src1=0 src2=0
	s_delay_alu instid0(VALU_DEP_4) | instskip(NEXT) | instid1(VALU_DEP_1)
	v_fmac_f64_e32 v[0:1], v[148:149], v[172:173]
	v_fmac_f64_e32 v[110:111], v[168:169], v[0:1]
	s_set_vgpr_msb 5                        ;  msbs: dst=0 src0=1 src1=1 src2=0
	v_mul_f64_e32 v[0:1], v[72:73] /*v[328:329]*/, v[46:47] /*v[302:303]*/
	s_set_vgpr_msb 64                       ;  msbs: dst=1 src0=0 src1=0 src2=0
	s_delay_alu instid0(VALU_DEP_2) | instskip(SKIP_1) | instid1(VALU_DEP_2)
	v_mov_b32_e32 v54 /*v310*/, v110
	s_set_vgpr_msb 5                        ;  msbs: dst=0 src0=1 src1=1 src2=0
	v_fmac_f64_e32 v[0:1], v[78:79] /*v[334:335]*/, v[44:45] /*v[300:301]*/
	s_set_vgpr_msb 0x44                     ;  msbs: dst=1 src0=0 src1=1 src2=0
	s_delay_alu instid0(VALU_DEP_4) | instskip(SKIP_3) | instid1(VALU_DEP_4)
	v_mov_b32_e32 v55 /*v311*/, v111
	v_fmac_f64_e32 v[96:97] /*v[352:353]*/, 0, v[64:65] /*v[320:321]*/
	v_fmac_f64_e32 v[98:99] /*v[354:355]*/, 0, v[68:69] /*v[324:325]*/
	s_set_vgpr_msb 1                        ;  msbs: dst=0 src0=1 src1=0 src2=0
	v_fmac_f64_e32 v[0:1], v[80:81] /*v[336:337]*/, v[172:173]
	s_set_vgpr_msb 0                        ;  msbs: dst=0 src0=0 src1=0 src2=0
	s_delay_alu instid0(VALU_DEP_1) | instskip(SKIP_3) | instid1(VALU_DEP_2)
	v_fmac_f64_e32 v[90:91], v[168:169], v[0:1]
	s_set_vgpr_msb 5                        ;  msbs: dst=0 src0=1 src1=1 src2=0
	v_mul_f64_e32 v[0:1], v[70:71] /*v[326:327]*/, v[46:47] /*v[302:303]*/
	s_set_vgpr_msb 64                       ;  msbs: dst=1 src0=0 src1=0 src2=0
	v_dual_mov_b32 v56 /*v312*/, v90 :: v_dual_mov_b32 v57 /*v313*/, v91
	s_set_vgpr_msb 5                        ;  msbs: dst=0 src0=1 src1=1 src2=0
	s_delay_alu instid0(VALU_DEP_2) | instskip(SKIP_1) | instid1(VALU_DEP_1)
	v_fmac_f64_e32 v[0:1], v[74:75] /*v[330:331]*/, v[44:45] /*v[300:301]*/
	s_set_vgpr_msb 1                        ;  msbs: dst=0 src0=1 src1=0 src2=0
	v_fmac_f64_e32 v[0:1], v[76:77] /*v[332:333]*/, v[172:173]
	s_set_vgpr_msb 0                        ;  msbs: dst=0 src0=0 src1=0 src2=0
	s_delay_alu instid0(VALU_DEP_1) | instskip(SKIP_1) | instid1(VALU_DEP_1)
	v_fmac_f64_e32 v[74:75], v[168:169], v[0:1]
	s_set_vgpr_msb 64                       ;  msbs: dst=1 src0=0 src1=0 src2=0
	v_dual_mov_b32 v58 /*v314*/, v74 :: v_dual_mov_b32 v59 /*v315*/, v75
	s_set_vgpr_msb 0x55                     ;  msbs: dst=1 src0=1 src1=1 src2=1
	s_clause 0x1
	scratch_store_b128 off, v[52:55] /*v[308:311]*/, off offset:880
	scratch_store_b128 off, v[56:59] /*v[312:315]*/, off offset:896
	s_wait_xcnt 0x1
	v_fma_f64 v[52:53] /*v[308:309]*/, v[8:9] /*v[264:265]*/, v[66:67] /*v[322:323]*/, v[82:83] /*v[338:339]*/
	v_fmac_f64_e32 v[82:83] /*v[338:339]*/, v[16:17] /*v[272:273]*/, v[66:67] /*v[322:323]*/
	v_fma_f64 v[54:55] /*v[310:311]*/, v[8:9] /*v[264:265]*/, v[64:65] /*v[320:321]*/, v[84:85] /*v[340:341]*/
	v_fmac_f64_e32 v[84:85] /*v[340:341]*/, v[16:17] /*v[272:273]*/, v[64:65] /*v[320:321]*/
	v_div_fixup_f64 v[66:67] /*v[322:323]*/, v[30:31] /*v[286:287]*/, v[28:29] /*v[284:285]*/, 1.0
	s_set_vgpr_msb 5                        ;  msbs: dst=0 src0=1 src1=1 src2=0
	s_delay_alu instid0(VALU_DEP_4) | instskip(SKIP_1) | instid1(VALU_DEP_2)
	v_mul_f64_e32 v[0:1], v[36:37] /*v[292:293]*/, v[82:83] /*v[338:339]*/
	s_set_vgpr_msb 0x45                     ;  msbs: dst=1 src0=1 src1=1 src2=0
	v_mul_f64_e32 v[26:27] /*v[282:283]*/, v[26:27] /*v[282:283]*/, v[66:67] /*v[322:323]*/
	v_mul_f64_e32 v[24:25] /*v[280:281]*/, v[24:25] /*v[280:281]*/, v[66:67] /*v[322:323]*/
	s_set_vgpr_msb 4                        ;  msbs: dst=0 src0=0 src1=1 src2=0
	v_mul_f64_e32 v[182:183], v[182:183], v[66:67] /*v[322:323]*/
	s_set_vgpr_msb 0x45                     ;  msbs: dst=1 src0=1 src1=1 src2=0
	v_mul_f64_e32 v[22:23] /*v[278:279]*/, v[22:23] /*v[278:279]*/, v[66:67] /*v[322:323]*/
	v_mul_f64_e32 v[118:119] /*v[374:375]*/, v[14:15] /*v[270:271]*/, v[66:67] /*v[322:323]*/
	s_set_vgpr_msb 5                        ;  msbs: dst=0 src0=1 src1=1 src2=0
	v_fmac_f64_e32 v[0:1], v[38:39] /*v[294:295]*/, v[84:85] /*v[340:341]*/
	s_set_vgpr_msb 0x45                     ;  msbs: dst=1 src0=1 src1=1 src2=0
	v_mul_f64_e32 v[28:29] /*v[284:285]*/, 0, v[24:25] /*v[280:281]*/
	v_mul_f64_e32 v[30:31] /*v[286:287]*/, v[4:5] /*v[260:261]*/, v[24:25] /*v[280:281]*/
	v_mul_f64_e32 v[64:65] /*v[320:321]*/, s[4:5], v[22:23] /*v[278:279]*/
	s_set_vgpr_msb 4                        ;  msbs: dst=0 src0=0 src1=1 src2=0
	s_delay_alu instid0(VALU_DEP_4) | instskip(SKIP_1) | instid1(VALU_DEP_3)
	v_fmac_f64_e32 v[0:1], v[156:157], v[86:87] /*v[342:343]*/
	s_set_vgpr_msb 0x55                     ;  msbs: dst=1 src0=1 src1=1 src2=1
	v_fma_f64 v[68:69] /*v[324:325]*/, v[26:27] /*v[282:283]*/, -v[2:3] /*v[258:259]*/, v[30:31] /*v[286:287]*/
	s_set_vgpr_msb 0x41                     ;  msbs: dst=1 src0=1 src1=0 src2=0
	s_delay_alu instid0(VALU_DEP_3) | instskip(SKIP_1) | instid1(VALU_DEP_3)
	v_fmac_f64_e32 v[64:65] /*v[320:321]*/, v[2:3] /*v[258:259]*/, v[182:183]
	s_set_vgpr_msb 0                        ;  msbs: dst=0 src0=0 src1=0 src2=0
	v_fmac_f64_e32 v[126:127], v[168:169], v[0:1]
	s_set_vgpr_msb 5                        ;  msbs: dst=0 src0=1 src1=1 src2=0
	v_mul_f64_e32 v[0:1], v[32:33] /*v[288:289]*/, v[82:83] /*v[338:339]*/
	s_wait_xcnt 0x0
	s_set_vgpr_msb 64                       ;  msbs: dst=1 src0=0 src1=0 src2=0
	s_delay_alu instid0(VALU_DEP_2) | instskip(SKIP_1) | instid1(VALU_DEP_2)
	v_dual_mov_b32 v56 /*v312*/, v126 :: v_dual_mov_b32 v57 /*v313*/, v127
	s_set_vgpr_msb 5                        ;  msbs: dst=0 src0=1 src1=1 src2=0
	v_fmac_f64_e32 v[0:1], v[34:35] /*v[290:291]*/, v[84:85] /*v[340:341]*/
	s_set_vgpr_msb 4                        ;  msbs: dst=0 src0=0 src1=1 src2=0
	s_delay_alu instid0(VALU_DEP_1) | instskip(SKIP_1) | instid1(VALU_DEP_1)
	v_fmac_f64_e32 v[0:1], v[148:149], v[86:87] /*v[342:343]*/
	s_set_vgpr_msb 0                        ;  msbs: dst=0 src0=0 src1=0 src2=0
	v_fmac_f64_e32 v[106:107], v[168:169], v[0:1]
	s_set_vgpr_msb 5                        ;  msbs: dst=0 src0=1 src1=1 src2=0
	v_mul_f64_e32 v[0:1], v[72:73] /*v[328:329]*/, v[82:83] /*v[338:339]*/
	s_set_vgpr_msb 64                       ;  msbs: dst=1 src0=0 src1=0 src2=0
	s_delay_alu instid0(VALU_DEP_2) | instskip(SKIP_1) | instid1(VALU_DEP_2)
	v_dual_mov_b32 v58 /*v314*/, v106 :: v_dual_mov_b32 v59 /*v315*/, v107
	s_set_vgpr_msb 5                        ;  msbs: dst=0 src0=1 src1=1 src2=0
	v_fmac_f64_e32 v[0:1], v[78:79] /*v[334:335]*/, v[84:85] /*v[340:341]*/
	s_delay_alu instid0(VALU_DEP_1) | instskip(SKIP_1) | instid1(VALU_DEP_1)
	v_fmac_f64_e32 v[0:1], v[80:81] /*v[336:337]*/, v[86:87] /*v[342:343]*/
	s_set_vgpr_msb 0                        ;  msbs: dst=0 src0=0 src1=0 src2=0
	v_fmac_f64_e32 v[86:87], v[168:169], v[0:1]
	s_set_vgpr_msb 5                        ;  msbs: dst=0 src0=1 src1=1 src2=0
	v_mul_f64_e32 v[0:1], v[70:71] /*v[326:327]*/, v[82:83] /*v[338:339]*/
	s_set_vgpr_msb 64                       ;  msbs: dst=1 src0=0 src1=0 src2=0
	s_delay_alu instid0(VALU_DEP_2) | instskip(SKIP_1) | instid1(VALU_DEP_2)
	v_dual_mov_b32 v60 /*v316*/, v86 :: v_dual_mov_b32 v61 /*v317*/, v87
	s_set_vgpr_msb 5                        ;  msbs: dst=0 src0=1 src1=1 src2=0
	v_fmac_f64_e32 v[0:1], v[74:75] /*v[330:331]*/, v[84:85] /*v[340:341]*/
	s_delay_alu instid0(VALU_DEP_1) | instskip(SKIP_1) | instid1(VALU_DEP_1)
	v_fmac_f64_e32 v[0:1], v[76:77] /*v[332:333]*/, v[86:87] /*v[342:343]*/
	s_set_vgpr_msb 0                        ;  msbs: dst=0 src0=0 src1=0 src2=0
	v_fmac_f64_e32 v[70:71], v[168:169], v[0:1]
	s_set_vgpr_msb 5                        ;  msbs: dst=0 src0=1 src1=1 src2=0
	v_mul_f64_e32 v[0:1], v[48:49] /*v[304:305]*/, v[88:89] /*v[344:345]*/
	s_set_vgpr_msb 64                       ;  msbs: dst=1 src0=0 src1=0 src2=0
	s_delay_alu instid0(VALU_DEP_2) | instskip(SKIP_1) | instid1(VALU_DEP_2)
	v_dual_mov_b32 v62 /*v318*/, v70 :: v_dual_mov_b32 v63 /*v319*/, v71
	s_set_vgpr_msb 5                        ;  msbs: dst=0 src0=1 src1=1 src2=0
	v_fmac_f64_e32 v[0:1], v[50:51] /*v[306:307]*/, v[90:91] /*v[346:347]*/
	s_clause 0x1
	scratch_store_b128 off, v[56:59] /*v[312:315]*/, off offset:1072
	scratch_store_b128 off, v[60:63] /*v[316:319]*/, off offset:1088
	s_set_vgpr_msb 4                        ;  msbs: dst=0 src0=0 src1=1 src2=0
	v_fmac_f64_e32 v[0:1], v[170:171], v[92:93] /*v[348:349]*/
	s_set_vgpr_msb 0                        ;  msbs: dst=0 src0=0 src1=0 src2=0
	s_delay_alu instid0(VALU_DEP_1) | instskip(SKIP_4) | instid1(VALU_DEP_2)
	v_fmac_f64_e32 v[62:63], v[168:169], v[0:1]
	s_set_vgpr_msb 5                        ;  msbs: dst=0 src0=1 src1=1 src2=0
	v_mul_f64_e32 v[0:1], v[42:43] /*v[298:299]*/, v[88:89] /*v[344:345]*/
	s_wait_xcnt 0x1
	s_set_vgpr_msb 64                       ;  msbs: dst=1 src0=0 src1=0 src2=0
	v_dual_mov_b32 v56 /*v312*/, v62 :: v_dual_mov_b32 v57 /*v313*/, v63
	s_set_vgpr_msb 5                        ;  msbs: dst=0 src0=1 src1=1 src2=0
	s_delay_alu instid0(VALU_DEP_2) | instskip(SKIP_1) | instid1(VALU_DEP_1)
	v_fmac_f64_e32 v[0:1], v[40:41] /*v[296:297]*/, v[90:91] /*v[346:347]*/
	s_set_vgpr_msb 4                        ;  msbs: dst=0 src0=0 src1=1 src2=0
	v_fmac_f64_e32 v[0:1], v[164:165], v[92:93] /*v[348:349]*/
	s_set_vgpr_msb 0                        ;  msbs: dst=0 src0=0 src1=0 src2=0
	s_delay_alu instid0(VALU_DEP_1) | instskip(SKIP_3) | instid1(VALU_DEP_2)
	v_fmac_f64_e32 v[50:51], v[168:169], v[0:1]
	s_set_vgpr_msb 5                        ;  msbs: dst=0 src0=1 src1=1 src2=0
	v_mul_f64_e32 v[0:1], v[94:95] /*v[350:351]*/, v[88:89] /*v[344:345]*/
	s_set_vgpr_msb 64                       ;  msbs: dst=1 src0=0 src1=0 src2=0
	v_dual_mov_b32 v58 /*v314*/, v50 :: v_dual_mov_b32 v59 /*v315*/, v51
	s_set_vgpr_msb 5                        ;  msbs: dst=0 src0=1 src1=1 src2=0
	s_delay_alu instid0(VALU_DEP_2) | instskip(SKIP_3) | instid1(VALU_DEP_1)
	v_fmac_f64_e32 v[0:1], v[96:97] /*v[352:353]*/, v[90:91] /*v[346:347]*/
	scratch_store_b128 off, v[56:59] /*v[312:315]*/, off offset:720
	v_fmac_f64_e32 v[0:1], v[98:99] /*v[354:355]*/, v[92:93] /*v[348:349]*/
	s_set_vgpr_msb 0                        ;  msbs: dst=0 src0=0 src1=0 src2=0
	v_fmac_f64_e32 v[38:39], v[168:169], v[0:1]
	s_set_vgpr_msb 5                        ;  msbs: dst=0 src0=1 src1=1 src2=0
	v_mul_f64_e32 v[0:1], v[88:89] /*v[344:345]*/, v[88:89] /*v[344:345]*/
	s_set_vgpr_msb 0                        ;  msbs: dst=0 src0=0 src1=0 src2=0
	s_delay_alu instid0(VALU_DEP_2) | instskip(SKIP_1) | instid1(VALU_DEP_2)
	v_mov_b32_e32 v152, v38
	s_set_vgpr_msb 5                        ;  msbs: dst=0 src0=1 src1=1 src2=0
	v_fmac_f64_e32 v[0:1], v[90:91] /*v[346:347]*/, v[90:91] /*v[346:347]*/
	s_set_vgpr_msb 0                        ;  msbs: dst=0 src0=0 src1=0 src2=0
	s_delay_alu instid0(VALU_DEP_4) | instskip(SKIP_1) | instid1(VALU_DEP_2)
	v_mov_b32_e32 v153, v39
	s_set_vgpr_msb 5                        ;  msbs: dst=0 src0=1 src1=1 src2=0
	v_fmac_f64_e32 v[0:1], v[92:93] /*v[348:349]*/, v[92:93] /*v[348:349]*/
	s_set_vgpr_msb 0                        ;  msbs: dst=0 src0=0 src1=0 src2=0
	s_delay_alu instid0(VALU_DEP_1) | instskip(SKIP_2) | instid1(VALU_DEP_1)
	v_fmac_f64_e32 v[154:155], v[168:169], v[0:1]
	s_set_vgpr_msb 5                        ;  msbs: dst=0 src0=1 src1=1 src2=0
	v_mul_f64_e32 v[0:1], v[48:49] /*v[304:305]*/, v[46:47] /*v[302:303]*/
	v_fmac_f64_e32 v[0:1], v[50:51] /*v[306:307]*/, v[44:45] /*v[300:301]*/
	s_set_vgpr_msb 0                        ;  msbs: dst=0 src0=0 src1=0 src2=0
	s_delay_alu instid0(VALU_DEP_1) | instskip(NEXT) | instid1(VALU_DEP_1)
	v_fmac_f64_e32 v[0:1], v[170:171], v[172:173]
	v_fmac_f64_e32 v[58:59], v[168:169], v[0:1]
	s_set_vgpr_msb 5                        ;  msbs: dst=0 src0=1 src1=1 src2=0
	v_mul_f64_e32 v[0:1], v[42:43] /*v[298:299]*/, v[46:47] /*v[302:303]*/
	s_wait_xcnt 0x0
	s_set_vgpr_msb 64                       ;  msbs: dst=1 src0=0 src1=0 src2=0
	s_delay_alu instid0(VALU_DEP_2) | instskip(SKIP_1) | instid1(VALU_DEP_2)
	v_dual_mov_b32 v56 /*v312*/, v58 :: v_dual_mov_b32 v57 /*v313*/, v59
	s_set_vgpr_msb 5                        ;  msbs: dst=0 src0=1 src1=1 src2=0
	v_fmac_f64_e32 v[0:1], v[40:41] /*v[296:297]*/, v[44:45] /*v[300:301]*/
	s_set_vgpr_msb 0                        ;  msbs: dst=0 src0=0 src1=0 src2=0
	s_delay_alu instid0(VALU_DEP_1) | instskip(NEXT) | instid1(VALU_DEP_1)
	v_fmac_f64_e32 v[0:1], v[164:165], v[172:173]
	v_fmac_f64_e32 v[46:47], v[168:169], v[0:1]
	s_set_vgpr_msb 5                        ;  msbs: dst=0 src0=1 src1=1 src2=0
	v_mul_f64_e32 v[0:1], v[94:95] /*v[350:351]*/, v[46:47] /*v[302:303]*/
	s_set_vgpr_msb 64                       ;  msbs: dst=1 src0=0 src1=0 src2=0
	s_delay_alu instid0(VALU_DEP_2) | instskip(SKIP_1) | instid1(VALU_DEP_2)
	v_dual_mov_b32 v58 /*v314*/, v46 :: v_dual_mov_b32 v59 /*v315*/, v47
	s_set_vgpr_msb 5                        ;  msbs: dst=0 src0=1 src1=1 src2=0
	v_fmac_f64_e32 v[0:1], v[96:97] /*v[352:353]*/, v[44:45] /*v[300:301]*/
	s_set_vgpr_msb 1                        ;  msbs: dst=0 src0=1 src1=0 src2=0
	s_delay_alu instid0(VALU_DEP_1) | instskip(SKIP_1) | instid1(VALU_DEP_1)
	v_fmac_f64_e32 v[0:1], v[98:99] /*v[354:355]*/, v[172:173]
	s_set_vgpr_msb 0                        ;  msbs: dst=0 src0=0 src1=0 src2=0
	v_fmac_f64_e32 v[34:35], v[168:169], v[0:1]
	s_set_vgpr_msb 5                        ;  msbs: dst=0 src0=1 src1=1 src2=0
	v_mul_f64_e32 v[0:1], v[88:89] /*v[344:345]*/, v[46:47] /*v[302:303]*/
	s_set_vgpr_msb 64                       ;  msbs: dst=1 src0=0 src1=0 src2=0
	s_delay_alu instid0(VALU_DEP_2) | instskip(SKIP_1) | instid1(VALU_DEP_2)
	v_dual_mov_b32 v60 /*v316*/, v34 :: v_dual_mov_b32 v61 /*v317*/, v35
	s_set_vgpr_msb 5                        ;  msbs: dst=0 src0=1 src1=1 src2=0
	v_fmac_f64_e32 v[0:1], v[90:91] /*v[346:347]*/, v[44:45] /*v[300:301]*/
	s_set_vgpr_msb 1                        ;  msbs: dst=0 src0=1 src1=0 src2=0
	s_delay_alu instid0(VALU_DEP_1) | instskip(SKIP_1) | instid1(VALU_DEP_1)
	v_fmac_f64_e32 v[0:1], v[92:93] /*v[348:349]*/, v[172:173]
	s_set_vgpr_msb 0                        ;  msbs: dst=0 src0=0 src1=0 src2=0
	v_fmac_f64_e32 v[26:27], v[168:169], v[0:1]
	s_set_vgpr_msb 5                        ;  msbs: dst=0 src0=1 src1=1 src2=0
	v_mul_f64_e32 v[0:1], v[48:49] /*v[304:305]*/, v[82:83] /*v[338:339]*/
	s_set_vgpr_msb 64                       ;  msbs: dst=1 src0=0 src1=0 src2=0
	s_delay_alu instid0(VALU_DEP_2) | instskip(SKIP_1) | instid1(VALU_DEP_2)
	v_dual_mov_b32 v62 /*v318*/, v26 :: v_dual_mov_b32 v63 /*v319*/, v27
	s_set_vgpr_msb 5                        ;  msbs: dst=0 src0=1 src1=1 src2=0
	v_fmac_f64_e32 v[0:1], v[50:51] /*v[306:307]*/, v[84:85] /*v[340:341]*/
	s_clause 0x1
	scratch_store_b128 off, v[56:59] /*v[312:315]*/, off offset:912
	scratch_store_b128 off, v[60:63] /*v[316:319]*/, off offset:928
	s_set_vgpr_msb 4                        ;  msbs: dst=0 src0=0 src1=1 src2=0
	v_fmac_f64_e32 v[0:1], v[170:171], v[86:87] /*v[342:343]*/
	s_set_vgpr_msb 0                        ;  msbs: dst=0 src0=0 src1=0 src2=0
	s_delay_alu instid0(VALU_DEP_1) | instskip(SKIP_4) | instid1(VALU_DEP_2)
	v_fmac_f64_e32 v[54:55], v[168:169], v[0:1]
	s_set_vgpr_msb 5                        ;  msbs: dst=0 src0=1 src1=1 src2=0
	v_mul_f64_e32 v[0:1], v[42:43] /*v[298:299]*/, v[82:83] /*v[338:339]*/
	s_wait_xcnt 0x1
	s_set_vgpr_msb 64                       ;  msbs: dst=1 src0=0 src1=0 src2=0
	v_dual_mov_b32 v56 /*v312*/, v54 :: v_dual_mov_b32 v57 /*v313*/, v55
	s_set_vgpr_msb 5                        ;  msbs: dst=0 src0=1 src1=1 src2=0
	s_delay_alu instid0(VALU_DEP_2) | instskip(SKIP_1) | instid1(VALU_DEP_1)
	v_fmac_f64_e32 v[0:1], v[40:41] /*v[296:297]*/, v[84:85] /*v[340:341]*/
	s_set_vgpr_msb 4                        ;  msbs: dst=0 src0=0 src1=1 src2=0
	v_fmac_f64_e32 v[0:1], v[164:165], v[86:87] /*v[342:343]*/
	s_set_vgpr_msb 0                        ;  msbs: dst=0 src0=0 src1=0 src2=0
	s_delay_alu instid0(VALU_DEP_1) | instskip(SKIP_3) | instid1(VALU_DEP_2)
	v_fmac_f64_e32 v[42:43], v[168:169], v[0:1]
	s_set_vgpr_msb 5                        ;  msbs: dst=0 src0=1 src1=1 src2=0
	v_mul_f64_e32 v[0:1], v[94:95] /*v[350:351]*/, v[82:83] /*v[338:339]*/
	s_set_vgpr_msb 64                       ;  msbs: dst=1 src0=0 src1=0 src2=0
	v_dual_mov_b32 v58 /*v314*/, v42 :: v_dual_mov_b32 v59 /*v315*/, v43
	s_set_vgpr_msb 5                        ;  msbs: dst=0 src0=1 src1=1 src2=0
	s_delay_alu instid0(VALU_DEP_2) | instskip(NEXT) | instid1(VALU_DEP_1)
	v_fmac_f64_e32 v[0:1], v[96:97] /*v[352:353]*/, v[84:85] /*v[340:341]*/
	v_fmac_f64_e32 v[0:1], v[98:99] /*v[354:355]*/, v[86:87] /*v[342:343]*/
	s_set_vgpr_msb 0                        ;  msbs: dst=0 src0=0 src1=0 src2=0
	s_delay_alu instid0(VALU_DEP_1) | instskip(SKIP_4) | instid1(VALU_DEP_2)
	v_fmac_f64_e32 v[30:31], v[168:169], v[0:1]
	s_set_vgpr_msb 5                        ;  msbs: dst=0 src0=1 src1=1 src2=0
	v_mul_f64_e32 v[0:1], v[88:89] /*v[344:345]*/, v[82:83] /*v[338:339]*/
	s_wait_xcnt 0x0
	s_set_vgpr_msb 64                       ;  msbs: dst=1 src0=0 src1=0 src2=0
	v_dual_mov_b32 v60 /*v316*/, v30 :: v_dual_mov_b32 v61 /*v317*/, v31
	s_set_vgpr_msb 5                        ;  msbs: dst=0 src0=1 src1=1 src2=0
	s_delay_alu instid0(VALU_DEP_2) | instskip(NEXT) | instid1(VALU_DEP_1)
	v_fmac_f64_e32 v[0:1], v[90:91] /*v[346:347]*/, v[84:85] /*v[340:341]*/
	v_fmac_f64_e32 v[0:1], v[92:93] /*v[348:349]*/, v[86:87] /*v[342:343]*/
	s_set_vgpr_msb 0                        ;  msbs: dst=0 src0=0 src1=0 src2=0
	s_delay_alu instid0(VALU_DEP_1) | instskip(SKIP_3) | instid1(VALU_DEP_2)
	v_fmac_f64_e32 v[22:23], v[168:169], v[0:1]
	s_set_vgpr_msb 5                        ;  msbs: dst=0 src0=1 src1=1 src2=0
	v_mul_f64_e32 v[0:1], v[52:53] /*v[308:309]*/, v[82:83] /*v[338:339]*/
	s_set_vgpr_msb 64                       ;  msbs: dst=1 src0=0 src1=0 src2=0
	v_dual_mov_b32 v62 /*v318*/, v22 :: v_dual_mov_b32 v63 /*v319*/, v23
	s_set_vgpr_msb 0x45                     ;  msbs: dst=1 src0=1 src1=1 src2=0
	s_clause 0x1
	scratch_store_b128 off, v[56:59] /*v[312:315]*/, off offset:1104
	scratch_store_b128 off, v[60:63] /*v[316:319]*/, off offset:1120
	s_wait_xcnt 0x1
	v_mul_f64_e32 v[56:57] /*v[312:313]*/, v[46:47] /*v[302:303]*/, v[82:83] /*v[338:339]*/
	v_mul_f64_e32 v[58:59] /*v[314:315]*/, v[100:101] /*v[356:357]*/, v[82:83] /*v[338:339]*/
	s_set_vgpr_msb 5                        ;  msbs: dst=0 src0=1 src1=1 src2=0
	v_fmac_f64_e32 v[0:1], v[54:55] /*v[310:311]*/, v[84:85] /*v[340:341]*/
	s_wait_xcnt 0x0
	s_set_vgpr_msb 0x55                     ;  msbs: dst=1 src0=1 src1=1 src2=1
	v_mul_f64_e32 v[60:61] /*v[316:317]*/, v[82:83] /*v[338:339]*/, v[82:83] /*v[338:339]*/
	v_fma_f64 v[82:83] /*v[338:339]*/, v[2:3] /*v[258:259]*/, v[26:27] /*v[282:283]*/, v[28:29] /*v[284:285]*/
	v_fmac_f64_e32 v[56:57] /*v[312:313]*/, v[44:45] /*v[300:301]*/, v[84:85] /*v[340:341]*/
	v_fmac_f64_e32 v[58:59] /*v[314:315]*/, v[102:103] /*v[358:359]*/, v[84:85] /*v[340:341]*/
	s_set_vgpr_msb 4                        ;  msbs: dst=0 src0=0 src1=1 src2=0
	v_fmac_f64_e32 v[0:1], v[174:175], v[86:87] /*v[342:343]*/
	s_set_vgpr_msb 0x45                     ;  msbs: dst=1 src0=1 src1=1 src2=0
	v_fmac_f64_e32 v[60:61] /*v[316:317]*/, v[84:85] /*v[340:341]*/, v[84:85] /*v[340:341]*/
	s_set_vgpr_msb 0x54                     ;  msbs: dst=1 src0=0 src1=1 src2=1
	v_fma_f64 v[84:85] /*v[340:341]*/, s[2:3], v[26:27] /*v[282:283]*/, v[28:29] /*v[284:285]*/
	v_fmac_f64_e32 v[56:57] /*v[312:313]*/, v[172:173], v[86:87] /*v[342:343]*/
	s_set_vgpr_msb 0x45                     ;  msbs: dst=1 src0=1 src1=1 src2=0
	v_fmac_f64_e32 v[58:59] /*v[314:315]*/, v[104:105] /*v[360:361]*/, v[86:87] /*v[342:343]*/
	s_set_vgpr_msb 0                        ;  msbs: dst=0 src0=0 src1=0 src2=0
	v_fmac_f64_e32 v[14:15], v[168:169], v[0:1]
	s_set_vgpr_msb 0x45                     ;  msbs: dst=1 src0=1 src1=1 src2=0
	v_fmac_f64_e32 v[60:61] /*v[316:317]*/, v[86:87] /*v[342:343]*/, v[86:87] /*v[342:343]*/
	s_set_vgpr_msb 4                        ;  msbs: dst=0 src0=0 src1=1 src2=0
	s_delay_alu instid0(VALU_DEP_4) | instskip(NEXT) | instid1(VALU_DEP_4)
	v_fmac_f64_e32 v[10:11], v[168:169], v[56:57] /*v[312:313]*/
	v_fmac_f64_e32 v[6:7], v[168:169], v[58:59] /*v[314:315]*/
	s_set_vgpr_msb 64                       ;  msbs: dst=1 src0=0 src1=0 src2=0
	s_delay_alu instid0(VALU_DEP_4) | instskip(SKIP_1) | instid1(VALU_DEP_4)
	v_dual_mov_b32 v56 /*v312*/, v14 :: v_dual_mov_b32 v57 /*v313*/, v15
	s_set_vgpr_msb 4                        ;  msbs: dst=0 src0=0 src1=1 src2=0
	v_fmac_f64_e32 v[2:3], v[168:169], v[60:61] /*v[316:317]*/
	s_set_vgpr_msb 64                       ;  msbs: dst=1 src0=0 src1=0 src2=0
	s_delay_alu instid0(VALU_DEP_4) | instskip(SKIP_1) | instid1(VALU_DEP_4)
	v_dual_mov_b32 v58 /*v314*/, v10 :: v_dual_mov_b32 v59 /*v315*/, v11
	s_set_vgpr_msb 4                        ;  msbs: dst=0 src0=0 src1=1 src2=0
	v_dual_mov_b32 v0, v6 :: v_dual_mov_b32 v1, v7
	scratch_store_b128 off, v[56:59] /*v[312:315]*/, off offset:1136
	s_wait_xcnt 0x0
	s_set_vgpr_msb 0x45                     ;  msbs: dst=1 src0=1 src1=1 src2=0
	v_mul_f64_e32 v[56:57] /*v[312:313]*/, v[36:37] /*v[292:293]*/, v[72:73] /*v[328:329]*/
	s_delay_alu instid0(VALU_DEP_1) | instskip(SKIP_1) | instid1(VALU_DEP_1)
	v_fmac_f64_e32 v[56:57] /*v[312:313]*/, v[38:39] /*v[294:295]*/, v[78:79] /*v[334:335]*/
	s_set_vgpr_msb 0x44                     ;  msbs: dst=1 src0=0 src1=1 src2=0
	v_fmac_f64_e32 v[56:57] /*v[312:313]*/, v[156:157], v[80:81] /*v[336:337]*/
	s_set_vgpr_msb 4                        ;  msbs: dst=0 src0=0 src1=1 src2=0
	s_delay_alu instid0(VALU_DEP_1) | instskip(SKIP_2) | instid1(VALU_DEP_1)
	v_fmac_f64_e32 v[140:141], v[168:169], v[56:57] /*v[312:313]*/
	s_set_vgpr_msb 0x45                     ;  msbs: dst=1 src0=1 src1=1 src2=0
	v_mul_f64_e32 v[56:57] /*v[312:313]*/, v[32:33] /*v[288:289]*/, v[72:73] /*v[328:329]*/
	v_fmac_f64_e32 v[56:57] /*v[312:313]*/, v[34:35] /*v[290:291]*/, v[78:79] /*v[334:335]*/
	s_set_vgpr_msb 0x44                     ;  msbs: dst=1 src0=0 src1=1 src2=0
	s_delay_alu instid0(VALU_DEP_1) | instskip(SKIP_1) | instid1(VALU_DEP_1)
	v_fmac_f64_e32 v[56:57] /*v[312:313]*/, v[148:149], v[80:81] /*v[336:337]*/
	s_set_vgpr_msb 4                        ;  msbs: dst=0 src0=0 src1=1 src2=0
	v_fmac_f64_e32 v[120:121], v[168:169], v[56:57] /*v[312:313]*/
	s_set_vgpr_msb 0x45                     ;  msbs: dst=1 src0=1 src1=1 src2=0
	v_mul_f64_e32 v[56:57] /*v[312:313]*/, v[72:73] /*v[328:329]*/, v[72:73] /*v[328:329]*/
	s_delay_alu instid0(VALU_DEP_1) | instskip(NEXT) | instid1(VALU_DEP_1)
	v_fmac_f64_e32 v[56:57] /*v[312:313]*/, v[78:79] /*v[334:335]*/, v[78:79] /*v[334:335]*/
	v_fmac_f64_e32 v[56:57] /*v[312:313]*/, v[80:81] /*v[336:337]*/, v[80:81] /*v[336:337]*/
	s_set_vgpr_msb 4                        ;  msbs: dst=0 src0=0 src1=1 src2=0
	s_delay_alu instid0(VALU_DEP_1)
	v_fmac_f64_e32 v[100:101], v[168:169], v[56:57] /*v[312:313]*/
	s_set_vgpr_msb 64                       ;  msbs: dst=1 src0=0 src1=0 src2=0
	v_mov_b64_e32 v[58:59] /*v[314:315]*/, v[142:143]
	v_mov_b64_e32 v[56:57] /*v[312:313]*/, v[140:141]
	v_dual_mov_b32 v58 /*v314*/, v120 :: v_dual_mov_b32 v59 /*v315*/, v121
	s_set_vgpr_msb 0x45                     ;  msbs: dst=1 src0=1 src1=1 src2=0
	scratch_store_b128 off, v[56:59] /*v[312:315]*/, off offset:208
	s_wait_xcnt 0x0
	v_mul_f64_e32 v[56:57] /*v[312:313]*/, v[36:37] /*v[292:293]*/, v[48:49] /*v[304:305]*/
	s_delay_alu instid0(VALU_DEP_1) | instskip(SKIP_1) | instid1(VALU_DEP_1)
	v_fmac_f64_e32 v[56:57] /*v[312:313]*/, v[38:39] /*v[294:295]*/, v[50:51] /*v[306:307]*/
	s_set_vgpr_msb 64                       ;  msbs: dst=1 src0=0 src1=0 src2=0
	v_fmac_f64_e32 v[56:57] /*v[312:313]*/, v[156:157], v[170:171]
	s_set_vgpr_msb 4                        ;  msbs: dst=0 src0=0 src1=1 src2=0
	s_delay_alu instid0(VALU_DEP_1) | instskip(SKIP_2) | instid1(VALU_DEP_1)
	v_fmac_f64_e32 v[136:137], v[168:169], v[56:57] /*v[312:313]*/
	s_set_vgpr_msb 0x45                     ;  msbs: dst=1 src0=1 src1=1 src2=0
	v_mul_f64_e32 v[56:57] /*v[312:313]*/, v[32:33] /*v[288:289]*/, v[48:49] /*v[304:305]*/
	v_fmac_f64_e32 v[56:57] /*v[312:313]*/, v[34:35] /*v[290:291]*/, v[50:51] /*v[306:307]*/
	s_set_vgpr_msb 64                       ;  msbs: dst=1 src0=0 src1=0 src2=0
	s_delay_alu instid0(VALU_DEP_1) | instskip(SKIP_1) | instid1(VALU_DEP_1)
	v_fmac_f64_e32 v[56:57] /*v[312:313]*/, v[148:149], v[170:171]
	s_set_vgpr_msb 4                        ;  msbs: dst=0 src0=0 src1=1 src2=0
	v_fmac_f64_e32 v[116:117], v[168:169], v[56:57] /*v[312:313]*/
	s_set_vgpr_msb 0x45                     ;  msbs: dst=1 src0=1 src1=1 src2=0
	v_mul_f64_e32 v[56:57] /*v[312:313]*/, v[72:73] /*v[328:329]*/, v[48:49] /*v[304:305]*/
	s_delay_alu instid0(VALU_DEP_1) | instskip(SKIP_1) | instid1(VALU_DEP_1)
	v_fmac_f64_e32 v[56:57] /*v[312:313]*/, v[78:79] /*v[334:335]*/, v[50:51] /*v[306:307]*/
	s_set_vgpr_msb 0x41                     ;  msbs: dst=1 src0=1 src1=0 src2=0
	v_fmac_f64_e32 v[56:57] /*v[312:313]*/, v[80:81] /*v[336:337]*/, v[170:171]
	s_set_vgpr_msb 4                        ;  msbs: dst=0 src0=0 src1=1 src2=0
	s_delay_alu instid0(VALU_DEP_1) | instskip(SKIP_4) | instid1(VALU_DEP_3)
	v_fmac_f64_e32 v[96:97], v[168:169], v[56:57] /*v[312:313]*/
	s_set_vgpr_msb 0x45                     ;  msbs: dst=1 src0=1 src1=1 src2=0
	v_mul_f64_e32 v[56:57] /*v[312:313]*/, v[70:71] /*v[326:327]*/, v[48:49] /*v[304:305]*/
	s_set_vgpr_msb 64                       ;  msbs: dst=1 src0=0 src1=0 src2=0
	v_mov_b64_e32 v[62:63] /*v[318:319]*/, v[98:99]
	v_mov_b64_e32 v[60:61] /*v[316:317]*/, v[96:97]
	s_set_vgpr_msb 0x45                     ;  msbs: dst=1 src0=1 src1=1 src2=0
	s_delay_alu instid0(VALU_DEP_3) | instskip(SKIP_1) | instid1(VALU_DEP_1)
	v_fmac_f64_e32 v[56:57] /*v[312:313]*/, v[74:75] /*v[330:331]*/, v[50:51] /*v[306:307]*/
	s_set_vgpr_msb 0x41                     ;  msbs: dst=1 src0=1 src1=0 src2=0
	v_fmac_f64_e32 v[56:57] /*v[312:313]*/, v[76:77] /*v[332:333]*/, v[170:171]
	s_set_vgpr_msb 4                        ;  msbs: dst=0 src0=0 src1=1 src2=0
	s_delay_alu instid0(VALU_DEP_1) | instskip(SKIP_4) | instid1(VALU_DEP_4)
	v_fmac_f64_e32 v[80:81], v[168:169], v[56:57] /*v[312:313]*/
	s_set_vgpr_msb 64                       ;  msbs: dst=1 src0=0 src1=0 src2=0
	v_mov_b64_e32 v[58:59] /*v[314:315]*/, v[138:139]
	v_mov_b64_e32 v[56:57] /*v[312:313]*/, v[136:137]
	v_dual_mov_b32 v58 /*v314*/, v116 :: v_dual_mov_b32 v59 /*v315*/, v117
	v_dual_mov_b32 v62 /*v318*/, v80 :: v_dual_mov_b32 v63 /*v319*/, v81
	s_set_vgpr_msb 0x45                     ;  msbs: dst=1 src0=1 src1=1 src2=0
	s_clause 0x1
	scratch_store_b128 off, v[56:59] /*v[312:315]*/, off offset:400
	scratch_store_b128 off, v[60:63] /*v[316:319]*/, off offset:416
	s_wait_xcnt 0x1
	v_mul_f64_e32 v[56:57] /*v[312:313]*/, v[36:37] /*v[292:293]*/, v[94:95] /*v[350:351]*/
	s_delay_alu instid0(VALU_DEP_1) | instskip(SKIP_1) | instid1(VALU_DEP_1)
	v_fmac_f64_e32 v[56:57] /*v[312:313]*/, v[38:39] /*v[294:295]*/, v[96:97] /*v[352:353]*/
	s_set_vgpr_msb 0x44                     ;  msbs: dst=1 src0=0 src1=1 src2=0
	v_fmac_f64_e32 v[56:57] /*v[312:313]*/, v[156:157], v[98:99] /*v[354:355]*/
	s_set_vgpr_msb 4                        ;  msbs: dst=0 src0=0 src1=1 src2=0
	s_delay_alu instid0(VALU_DEP_1) | instskip(SKIP_2) | instid1(VALU_DEP_1)
	v_fmac_f64_e32 v[132:133], v[168:169], v[56:57] /*v[312:313]*/
	s_set_vgpr_msb 0x45                     ;  msbs: dst=1 src0=1 src1=1 src2=0
	v_mul_f64_e32 v[56:57] /*v[312:313]*/, v[32:33] /*v[288:289]*/, v[94:95] /*v[350:351]*/
	v_fmac_f64_e32 v[56:57] /*v[312:313]*/, v[34:35] /*v[290:291]*/, v[96:97] /*v[352:353]*/
	s_set_vgpr_msb 0x44                     ;  msbs: dst=1 src0=0 src1=1 src2=0
	s_delay_alu instid0(VALU_DEP_1) | instskip(SKIP_1) | instid1(VALU_DEP_1)
	v_fmac_f64_e32 v[56:57] /*v[312:313]*/, v[148:149], v[98:99] /*v[354:355]*/
	s_set_vgpr_msb 4                        ;  msbs: dst=0 src0=0 src1=1 src2=0
	v_fmac_f64_e32 v[112:113], v[168:169], v[56:57] /*v[312:313]*/
	s_set_vgpr_msb 0x45                     ;  msbs: dst=1 src0=1 src1=1 src2=0
	v_mul_f64_e32 v[56:57] /*v[312:313]*/, v[72:73] /*v[328:329]*/, v[94:95] /*v[350:351]*/
	s_delay_alu instid0(VALU_DEP_1) | instskip(NEXT) | instid1(VALU_DEP_1)
	v_fmac_f64_e32 v[56:57] /*v[312:313]*/, v[78:79] /*v[334:335]*/, v[96:97] /*v[352:353]*/
	v_fmac_f64_e32 v[56:57] /*v[312:313]*/, v[80:81] /*v[336:337]*/, v[98:99] /*v[354:355]*/
	s_set_vgpr_msb 4                        ;  msbs: dst=0 src0=0 src1=1 src2=0
	s_delay_alu instid0(VALU_DEP_1)
	v_fmac_f64_e32 v[92:93], v[168:169], v[56:57] /*v[312:313]*/
	s_set_vgpr_msb 0x45                     ;  msbs: dst=1 src0=1 src1=1 src2=0
	v_mul_f64_e32 v[56:57] /*v[312:313]*/, v[70:71] /*v[326:327]*/, v[94:95] /*v[350:351]*/
	s_wait_xcnt 0x0
	s_set_vgpr_msb 64                       ;  msbs: dst=1 src0=0 src1=0 src2=0
	v_mov_b64_e32 v[62:63] /*v[318:319]*/, v[94:95]
	s_delay_alu instid0(VALU_DEP_3) | instskip(SKIP_1) | instid1(VALU_DEP_3)
	v_mov_b64_e32 v[60:61] /*v[316:317]*/, v[92:93]
	s_set_vgpr_msb 0x45                     ;  msbs: dst=1 src0=1 src1=1 src2=0
	v_fmac_f64_e32 v[56:57] /*v[312:313]*/, v[74:75] /*v[330:331]*/, v[96:97] /*v[352:353]*/
	s_delay_alu instid0(VALU_DEP_1) | instskip(SKIP_1) | instid1(VALU_DEP_1)
	v_fmac_f64_e32 v[56:57] /*v[312:313]*/, v[76:77] /*v[332:333]*/, v[98:99] /*v[354:355]*/
	s_set_vgpr_msb 4                        ;  msbs: dst=0 src0=0 src1=1 src2=0
	v_fmac_f64_e32 v[76:77], v[168:169], v[56:57] /*v[312:313]*/
	s_set_vgpr_msb 64                       ;  msbs: dst=1 src0=0 src1=0 src2=0
	v_mov_b64_e32 v[58:59] /*v[314:315]*/, v[134:135]
	v_mov_b64_e32 v[56:57] /*v[312:313]*/, v[132:133]
	v_dual_mov_b32 v58 /*v314*/, v112 :: v_dual_mov_b32 v59 /*v315*/, v113
	s_delay_alu instid0(VALU_DEP_4)
	v_dual_mov_b32 v62 /*v318*/, v76 :: v_dual_mov_b32 v63 /*v319*/, v77
	s_set_vgpr_msb 0x45                     ;  msbs: dst=1 src0=1 src1=1 src2=0
	s_clause 0x1
	scratch_store_b128 off, v[56:59] /*v[312:315]*/, off offset:592
	scratch_store_b128 off, v[60:63] /*v[316:319]*/, off offset:608
	s_wait_xcnt 0x1
	v_mul_f64_e32 v[56:57] /*v[312:313]*/, v[36:37] /*v[292:293]*/, v[52:53] /*v[308:309]*/
	s_delay_alu instid0(VALU_DEP_1) | instskip(SKIP_1) | instid1(VALU_DEP_1)
	v_fmac_f64_e32 v[56:57] /*v[312:313]*/, v[38:39] /*v[294:295]*/, v[54:55] /*v[310:311]*/
	s_set_vgpr_msb 64                       ;  msbs: dst=1 src0=0 src1=0 src2=0
	v_fmac_f64_e32 v[56:57] /*v[312:313]*/, v[156:157], v[174:175]
	s_set_vgpr_msb 4                        ;  msbs: dst=0 src0=0 src1=1 src2=0
	s_delay_alu instid0(VALU_DEP_1) | instskip(SKIP_2) | instid1(VALU_DEP_1)
	v_fmac_f64_e32 v[128:129], v[168:169], v[56:57] /*v[312:313]*/
	s_set_vgpr_msb 0x45                     ;  msbs: dst=1 src0=1 src1=1 src2=0
	v_mul_f64_e32 v[56:57] /*v[312:313]*/, v[32:33] /*v[288:289]*/, v[52:53] /*v[308:309]*/
	v_fmac_f64_e32 v[56:57] /*v[312:313]*/, v[34:35] /*v[290:291]*/, v[54:55] /*v[310:311]*/
	s_set_vgpr_msb 64                       ;  msbs: dst=1 src0=0 src1=0 src2=0
	s_delay_alu instid0(VALU_DEP_1) | instskip(SKIP_1) | instid1(VALU_DEP_1)
	v_fmac_f64_e32 v[56:57] /*v[312:313]*/, v[148:149], v[174:175]
	s_set_vgpr_msb 4                        ;  msbs: dst=0 src0=0 src1=1 src2=0
	v_fmac_f64_e32 v[108:109], v[168:169], v[56:57] /*v[312:313]*/
	s_set_vgpr_msb 0x45                     ;  msbs: dst=1 src0=1 src1=1 src2=0
	v_mul_f64_e32 v[56:57] /*v[312:313]*/, v[72:73] /*v[328:329]*/, v[52:53] /*v[308:309]*/
	s_delay_alu instid0(VALU_DEP_1) | instskip(SKIP_1) | instid1(VALU_DEP_1)
	v_fmac_f64_e32 v[56:57] /*v[312:313]*/, v[78:79] /*v[334:335]*/, v[54:55] /*v[310:311]*/
	s_set_vgpr_msb 0x41                     ;  msbs: dst=1 src0=1 src1=0 src2=0
	v_fmac_f64_e32 v[56:57] /*v[312:313]*/, v[80:81] /*v[336:337]*/, v[174:175]
	s_set_vgpr_msb 4                        ;  msbs: dst=0 src0=0 src1=1 src2=0
	s_delay_alu instid0(VALU_DEP_1)
	v_fmac_f64_e32 v[88:89], v[168:169], v[56:57] /*v[312:313]*/
	s_set_vgpr_msb 0x45                     ;  msbs: dst=1 src0=1 src1=1 src2=0
	v_mul_f64_e32 v[56:57] /*v[312:313]*/, v[70:71] /*v[326:327]*/, v[52:53] /*v[308:309]*/
	s_wait_xcnt 0x0
	s_set_vgpr_msb 64                       ;  msbs: dst=1 src0=0 src1=0 src2=0
	v_mov_b64_e32 v[62:63] /*v[318:319]*/, v[90:91]
	s_delay_alu instid0(VALU_DEP_3) | instskip(SKIP_1) | instid1(VALU_DEP_3)
	v_mov_b64_e32 v[60:61] /*v[316:317]*/, v[88:89]
	s_set_vgpr_msb 0x45                     ;  msbs: dst=1 src0=1 src1=1 src2=0
	v_fmac_f64_e32 v[56:57] /*v[312:313]*/, v[74:75] /*v[330:331]*/, v[54:55] /*v[310:311]*/
	s_set_vgpr_msb 0x41                     ;  msbs: dst=1 src0=1 src1=0 src2=0
	s_delay_alu instid0(VALU_DEP_1) | instskip(SKIP_1) | instid1(VALU_DEP_1)
	v_fmac_f64_e32 v[56:57] /*v[312:313]*/, v[76:77] /*v[332:333]*/, v[174:175]
	s_set_vgpr_msb 4                        ;  msbs: dst=0 src0=0 src1=1 src2=0
	v_fmac_f64_e32 v[72:73], v[168:169], v[56:57] /*v[312:313]*/
	s_set_vgpr_msb 64                       ;  msbs: dst=1 src0=0 src1=0 src2=0
	v_mov_b64_e32 v[58:59] /*v[314:315]*/, v[130:131]
	v_mov_b64_e32 v[56:57] /*v[312:313]*/, v[128:129]
	v_dual_mov_b32 v58 /*v314*/, v108 :: v_dual_mov_b32 v59 /*v315*/, v109
	s_delay_alu instid0(VALU_DEP_4)
	v_dual_mov_b32 v62 /*v318*/, v72 :: v_dual_mov_b32 v63 /*v319*/, v73
	s_set_vgpr_msb 0x45                     ;  msbs: dst=1 src0=1 src1=1 src2=0
	s_clause 0x1
	scratch_store_b128 off, v[56:59] /*v[312:315]*/, off offset:784
	scratch_store_b128 off, v[60:63] /*v[316:319]*/, off offset:800
	s_wait_xcnt 0x0
	v_mul_f64_e32 v[60:61] /*v[316:317]*/, v[36:37] /*v[292:293]*/, v[100:101] /*v[356:357]*/
	v_mul_f64_e32 v[56:57] /*v[312:313]*/, v[72:73] /*v[328:329]*/, v[100:101] /*v[356:357]*/
	;; [unrolled: 1-line block ×3, first 2 shown]
	s_delay_alu instid0(VALU_DEP_3) | instskip(NEXT) | instid1(VALU_DEP_3)
	v_fmac_f64_e32 v[60:61] /*v[316:317]*/, v[38:39] /*v[294:295]*/, v[102:103] /*v[358:359]*/
	v_fmac_f64_e32 v[56:57] /*v[312:313]*/, v[78:79] /*v[334:335]*/, v[102:103] /*v[358:359]*/
	s_delay_alu instid0(VALU_DEP_3)
	v_fmac_f64_e32 v[58:59] /*v[314:315]*/, v[74:75] /*v[330:331]*/, v[102:103] /*v[358:359]*/
	v_mul_f64_e32 v[74:75] /*v[330:331]*/, 0, v[26:27] /*v[282:283]*/
	s_set_vgpr_msb 0x51                     ;  msbs: dst=1 src0=1 src1=0 src2=1
	v_fma_f64 v[78:79] /*v[334:335]*/, -v[26:27] /*v[282:283]*/, s[2:3], v[28:29] /*v[284:285]*/
	s_set_vgpr_msb 0x44                     ;  msbs: dst=1 src0=0 src1=1 src2=0
	v_fmac_f64_e32 v[60:61] /*v[316:317]*/, v[156:157], v[104:105] /*v[360:361]*/
	s_set_vgpr_msb 0x45                     ;  msbs: dst=1 src0=1 src1=1 src2=0
	v_fmac_f64_e32 v[56:57] /*v[312:313]*/, v[80:81] /*v[336:337]*/, v[104:105] /*v[360:361]*/
	v_fmac_f64_e32 v[58:59] /*v[314:315]*/, v[76:77] /*v[332:333]*/, v[104:105] /*v[360:361]*/
	s_set_vgpr_msb 0x55                     ;  msbs: dst=1 src0=1 src1=1 src2=1
	v_fma_f64 v[72:73] /*v[328:329]*/, v[24:25] /*v[280:281]*/, -s[4:5], v[74:75] /*v[330:331]*/
	v_fma_f64 v[134:135] /*v[390:391]*/, v[4:5] /*v[260:261]*/, v[24:25] /*v[280:281]*/, v[74:75] /*v[330:331]*/
	s_set_vgpr_msb 4                        ;  msbs: dst=0 src0=0 src1=1 src2=0
	v_fmac_f64_e32 v[124:125], v[168:169], v[60:61] /*v[316:317]*/
	s_set_vgpr_msb 0x45                     ;  msbs: dst=1 src0=1 src1=1 src2=0
	v_mul_f64_e32 v[60:61] /*v[316:317]*/, v[32:33] /*v[288:289]*/, v[100:101] /*v[356:357]*/
	s_set_vgpr_msb 4                        ;  msbs: dst=0 src0=0 src1=1 src2=0
	v_fmac_f64_e32 v[84:85], v[168:169], v[56:57] /*v[312:313]*/
	v_fmac_f64_e32 v[68:69], v[168:169], v[58:59] /*v[314:315]*/
	s_set_vgpr_msb 64                       ;  msbs: dst=1 src0=0 src1=0 src2=0
	v_mov_b64_e32 v[58:59] /*v[314:315]*/, v[126:127]
	v_mov_b64_e32 v[56:57] /*v[312:313]*/, v[124:125]
	s_set_vgpr_msb 0x45                     ;  msbs: dst=1 src0=1 src1=1 src2=0
	v_fmac_f64_e32 v[60:61] /*v[316:317]*/, v[34:35] /*v[290:291]*/, v[102:103] /*v[358:359]*/
	s_set_vgpr_msb 0x44                     ;  msbs: dst=1 src0=0 src1=1 src2=0
	s_delay_alu instid0(VALU_DEP_1) | instskip(SKIP_1) | instid1(VALU_DEP_1)
	v_fmac_f64_e32 v[60:61] /*v[316:317]*/, v[148:149], v[104:105] /*v[360:361]*/
	s_set_vgpr_msb 4                        ;  msbs: dst=0 src0=0 src1=1 src2=0
	v_fmac_f64_e32 v[104:105], v[168:169], v[60:61] /*v[316:317]*/
	s_set_vgpr_msb 64                       ;  msbs: dst=1 src0=0 src1=0 src2=0
	v_mov_b64_e32 v[62:63] /*v[318:319]*/, v[86:87]
	v_mov_b64_e32 v[60:61] /*v[316:317]*/, v[84:85]
	v_dual_mov_b32 v62 /*v318*/, v68 :: v_dual_mov_b32 v63 /*v319*/, v69
	s_delay_alu instid0(VALU_DEP_4)
	v_dual_mov_b32 v58 /*v314*/, v104 :: v_dual_mov_b32 v59 /*v315*/, v105
	s_set_vgpr_msb 0x45                     ;  msbs: dst=1 src0=1 src1=1 src2=0
	s_clause 0x1
	scratch_store_b128 off, v[56:59] /*v[312:315]*/, off offset:976
	scratch_store_b128 off, v[60:63] /*v[316:319]*/, off offset:992
	s_wait_xcnt 0x1
	v_mul_f64_e32 v[56:57] /*v[312:313]*/, v[48:49] /*v[304:305]*/, v[94:95] /*v[350:351]*/
	s_delay_alu instid0(VALU_DEP_1) | instskip(SKIP_1) | instid1(VALU_DEP_1)
	v_fmac_f64_e32 v[56:57] /*v[312:313]*/, v[50:51] /*v[306:307]*/, v[96:97] /*v[352:353]*/
	s_set_vgpr_msb 0x44                     ;  msbs: dst=1 src0=0 src1=1 src2=0
	v_fmac_f64_e32 v[56:57] /*v[312:313]*/, v[170:171], v[98:99] /*v[354:355]*/
	s_set_vgpr_msb 4                        ;  msbs: dst=0 src0=0 src1=1 src2=0
	s_delay_alu instid0(VALU_DEP_1) | instskip(SKIP_2) | instid1(VALU_DEP_1)
	v_fmac_f64_e32 v[60:61], v[168:169], v[56:57] /*v[312:313]*/
	s_set_vgpr_msb 0x45                     ;  msbs: dst=1 src0=1 src1=1 src2=0
	v_mul_f64_e32 v[56:57] /*v[312:313]*/, v[42:43] /*v[298:299]*/, v[94:95] /*v[350:351]*/
	v_fmac_f64_e32 v[56:57] /*v[312:313]*/, v[40:41] /*v[296:297]*/, v[96:97] /*v[352:353]*/
	s_set_vgpr_msb 0x44                     ;  msbs: dst=1 src0=0 src1=1 src2=0
	s_delay_alu instid0(VALU_DEP_1) | instskip(SKIP_1) | instid1(VALU_DEP_1)
	v_fmac_f64_e32 v[56:57] /*v[312:313]*/, v[164:165], v[98:99] /*v[354:355]*/
	s_set_vgpr_msb 4                        ;  msbs: dst=0 src0=0 src1=1 src2=0
	v_fmac_f64_e32 v[48:49], v[168:169], v[56:57] /*v[312:313]*/
	s_set_vgpr_msb 0x45                     ;  msbs: dst=1 src0=1 src1=1 src2=0
	v_mul_f64_e32 v[56:57] /*v[312:313]*/, v[94:95] /*v[350:351]*/, v[94:95] /*v[350:351]*/
	s_delay_alu instid0(VALU_DEP_1) | instskip(NEXT) | instid1(VALU_DEP_1)
	v_fmac_f64_e32 v[56:57] /*v[312:313]*/, v[96:97] /*v[352:353]*/, v[96:97] /*v[352:353]*/
	v_fmac_f64_e32 v[56:57] /*v[312:313]*/, v[98:99] /*v[354:355]*/, v[98:99] /*v[354:355]*/
	s_set_vgpr_msb 4                        ;  msbs: dst=0 src0=0 src1=1 src2=0
	s_delay_alu instid0(VALU_DEP_1)
	v_fmac_f64_e32 v[36:37], v[168:169], v[56:57] /*v[312:313]*/
	s_set_vgpr_msb 64                       ;  msbs: dst=1 src0=0 src1=0 src2=0
	v_mov_b64_e32 v[58:59] /*v[314:315]*/, v[62:63]
	v_mov_b64_e32 v[56:57] /*v[312:313]*/, v[60:61]
	v_dual_mov_b32 v58 /*v314*/, v48 :: v_dual_mov_b32 v59 /*v315*/, v49
	s_set_vgpr_msb 0x45                     ;  msbs: dst=1 src0=1 src1=1 src2=0
	scratch_store_b128 off, v[56:59] /*v[312:315]*/, off offset:624
	s_wait_xcnt 0x0
	v_mul_f64_e32 v[56:57] /*v[312:313]*/, v[48:49] /*v[304:305]*/, v[52:53] /*v[308:309]*/
	s_delay_alu instid0(VALU_DEP_1) | instskip(SKIP_1) | instid1(VALU_DEP_1)
	v_fmac_f64_e32 v[56:57] /*v[312:313]*/, v[50:51] /*v[306:307]*/, v[54:55] /*v[310:311]*/
	s_set_vgpr_msb 64                       ;  msbs: dst=1 src0=0 src1=0 src2=0
	v_fmac_f64_e32 v[56:57] /*v[312:313]*/, v[170:171], v[174:175]
	s_set_vgpr_msb 4                        ;  msbs: dst=0 src0=0 src1=1 src2=0
	s_delay_alu instid0(VALU_DEP_1) | instskip(SKIP_2) | instid1(VALU_DEP_1)
	v_fmac_f64_e32 v[56:57], v[168:169], v[56:57] /*v[312:313]*/
	s_set_vgpr_msb 0x45                     ;  msbs: dst=1 src0=1 src1=1 src2=0
	v_mul_f64_e32 v[56:57] /*v[312:313]*/, v[42:43] /*v[298:299]*/, v[52:53] /*v[308:309]*/
	v_fmac_f64_e32 v[56:57] /*v[312:313]*/, v[40:41] /*v[296:297]*/, v[54:55] /*v[310:311]*/
	s_set_vgpr_msb 64                       ;  msbs: dst=1 src0=0 src1=0 src2=0
	s_delay_alu instid0(VALU_DEP_1) | instskip(SKIP_1) | instid1(VALU_DEP_1)
	v_fmac_f64_e32 v[56:57] /*v[312:313]*/, v[164:165], v[174:175]
	s_set_vgpr_msb 4                        ;  msbs: dst=0 src0=0 src1=1 src2=0
	v_fmac_f64_e32 v[44:45], v[168:169], v[56:57] /*v[312:313]*/
	s_set_vgpr_msb 0x45                     ;  msbs: dst=1 src0=1 src1=1 src2=0
	v_mul_f64_e32 v[56:57] /*v[312:313]*/, v[94:95] /*v[350:351]*/, v[52:53] /*v[308:309]*/
	s_delay_alu instid0(VALU_DEP_1) | instskip(SKIP_1) | instid1(VALU_DEP_1)
	v_fmac_f64_e32 v[56:57] /*v[312:313]*/, v[96:97] /*v[352:353]*/, v[54:55] /*v[310:311]*/
	s_set_vgpr_msb 0x41                     ;  msbs: dst=1 src0=1 src1=0 src2=0
	v_fmac_f64_e32 v[56:57] /*v[312:313]*/, v[98:99] /*v[354:355]*/, v[174:175]
	s_set_vgpr_msb 4                        ;  msbs: dst=0 src0=0 src1=1 src2=0
	s_delay_alu instid0(VALU_DEP_1) | instskip(SKIP_4) | instid1(VALU_DEP_3)
	v_fmac_f64_e32 v[32:33], v[168:169], v[56:57] /*v[312:313]*/
	s_set_vgpr_msb 0x45                     ;  msbs: dst=1 src0=1 src1=1 src2=0
	v_mul_f64_e32 v[56:57] /*v[312:313]*/, v[88:89] /*v[344:345]*/, v[52:53] /*v[308:309]*/
	s_set_vgpr_msb 64                       ;  msbs: dst=1 src0=0 src1=0 src2=0
	v_mov_b64_e32 v[62:63] /*v[318:319]*/, v[34:35]
	v_mov_b64_e32 v[60:61] /*v[316:317]*/, v[32:33]
	s_set_vgpr_msb 0x45                     ;  msbs: dst=1 src0=1 src1=1 src2=0
	s_delay_alu instid0(VALU_DEP_3) | instskip(SKIP_1) | instid1(VALU_DEP_1)
	v_fmac_f64_e32 v[56:57] /*v[312:313]*/, v[90:91] /*v[346:347]*/, v[54:55] /*v[310:311]*/
	s_set_vgpr_msb 0x41                     ;  msbs: dst=1 src0=1 src1=0 src2=0
	v_fmac_f64_e32 v[56:57] /*v[312:313]*/, v[92:93] /*v[348:349]*/, v[174:175]
	s_set_vgpr_msb 4                        ;  msbs: dst=0 src0=0 src1=1 src2=0
	s_delay_alu instid0(VALU_DEP_1) | instskip(SKIP_4) | instid1(VALU_DEP_4)
	v_fmac_f64_e32 v[24:25], v[168:169], v[56:57] /*v[312:313]*/
	s_set_vgpr_msb 64                       ;  msbs: dst=1 src0=0 src1=0 src2=0
	v_mov_b64_e32 v[58:59] /*v[314:315]*/, v[58:59]
	v_mov_b64_e32 v[56:57] /*v[312:313]*/, v[56:57]
	v_dual_mov_b32 v58 /*v314*/, v44 :: v_dual_mov_b32 v59 /*v315*/, v45
	v_dual_mov_b32 v62 /*v318*/, v24 :: v_dual_mov_b32 v63 /*v319*/, v25
	s_set_vgpr_msb 0x55                     ;  msbs: dst=1 src0=1 src1=1 src2=1
	s_clause 0x1
	scratch_store_b128 off, v[56:59] /*v[312:315]*/, off offset:816
	scratch_store_b128 off, v[60:63] /*v[316:319]*/, off offset:832
	s_wait_xcnt 0x0
	v_mul_f64_e32 v[60:61] /*v[316:317]*/, v[48:49] /*v[304:305]*/, v[100:101] /*v[356:357]*/
	v_mul_f64_e32 v[56:57] /*v[312:313]*/, v[94:95] /*v[350:351]*/, v[100:101] /*v[356:357]*/
	;; [unrolled: 1-line block ×3, first 2 shown]
	v_fma_f64 v[88:89] /*v[344:345]*/, -v[26:27] /*v[282:283]*/, v[2:3] /*v[258:259]*/, v[28:29] /*v[284:285]*/
	v_mul_f64_e64 v[28:29] /*v[284:285]*/, v[22:23] /*v[278:279]*/, -v[4:5] /*v[260:261]*/
	v_fmac_f64_e32 v[60:61] /*v[316:317]*/, v[50:51] /*v[306:307]*/, v[102:103] /*v[358:359]*/
	v_fmac_f64_e32 v[56:57] /*v[312:313]*/, v[96:97] /*v[352:353]*/, v[102:103] /*v[358:359]*/
	;; [unrolled: 1-line block ×3, first 2 shown]
	s_set_vgpr_msb 0x50                     ;  msbs: dst=1 src0=0 src1=0 src2=1
	v_mul_f64_e32 v[90:91] /*v[346:347]*/, 0, v[182:183]
	v_fma_f64 v[70:71] /*v[326:327]*/, v[182:183], -s[2:3], v[28:29] /*v[284:285]*/
	s_set_vgpr_msb 0x44                     ;  msbs: dst=1 src0=0 src1=1 src2=0
	v_fmac_f64_e32 v[60:61] /*v[316:317]*/, v[170:171], v[104:105] /*v[360:361]*/
	s_set_vgpr_msb 0x55                     ;  msbs: dst=1 src0=1 src1=1 src2=1
	v_fmac_f64_e32 v[56:57] /*v[312:313]*/, v[98:99] /*v[354:355]*/, v[104:105] /*v[360:361]*/
	v_fmac_f64_e32 v[58:59] /*v[314:315]*/, v[92:93] /*v[348:349]*/, v[104:105] /*v[360:361]*/
	v_fma_f64 v[92:93] /*v[348:349]*/, v[24:25] /*v[280:281]*/, -v[4:5] /*v[260:261]*/, v[74:75] /*v[330:331]*/
	v_fmac_f64_e32 v[74:75] /*v[330:331]*/, s[4:5], v[24:25] /*v[280:281]*/
	v_fma_f64 v[96:97] /*v[352:353]*/, v[22:23] /*v[278:279]*/, -v[4:5] /*v[260:261]*/, v[90:91] /*v[346:347]*/
	v_fma_f64 v[94:95] /*v[350:351]*/, v[22:23] /*v[278:279]*/, -s[4:5], v[90:91] /*v[346:347]*/
	v_fma_f64 v[146:147] /*v[402:403]*/, v[4:5] /*v[260:261]*/, v[22:23] /*v[278:279]*/, v[90:91] /*v[346:347]*/
	v_fmac_f64_e32 v[90:91] /*v[346:347]*/, s[4:5], v[22:23] /*v[278:279]*/
	s_set_vgpr_msb 4                        ;  msbs: dst=0 src0=0 src1=1 src2=0
	v_fmac_f64_e32 v[52:53], v[168:169], v[60:61] /*v[316:317]*/
	s_set_vgpr_msb 0x45                     ;  msbs: dst=1 src0=1 src1=1 src2=0
	v_mul_f64_e32 v[60:61] /*v[316:317]*/, v[42:43] /*v[298:299]*/, v[100:101] /*v[356:357]*/
	s_set_vgpr_msb 4                        ;  msbs: dst=0 src0=0 src1=1 src2=0
	v_fmac_f64_e32 v[28:29], v[168:169], v[56:57] /*v[312:313]*/
	v_fmac_f64_e32 v[20:21], v[168:169], v[58:59] /*v[314:315]*/
	s_set_vgpr_msb 64                       ;  msbs: dst=1 src0=0 src1=0 src2=0
	v_mov_b64_e32 v[58:59] /*v[314:315]*/, v[54:55]
	v_mov_b64_e32 v[56:57] /*v[312:313]*/, v[52:53]
	s_set_vgpr_msb 0x45                     ;  msbs: dst=1 src0=1 src1=1 src2=0
	v_fmac_f64_e32 v[60:61] /*v[316:317]*/, v[40:41] /*v[296:297]*/, v[102:103] /*v[358:359]*/
	s_set_vgpr_msb 0x44                     ;  msbs: dst=1 src0=0 src1=1 src2=0
	s_delay_alu instid0(VALU_DEP_1) | instskip(SKIP_1) | instid1(VALU_DEP_1)
	v_fmac_f64_e32 v[60:61] /*v[316:317]*/, v[164:165], v[104:105] /*v[360:361]*/
	s_set_vgpr_msb 4                        ;  msbs: dst=0 src0=0 src1=1 src2=0
	v_fmac_f64_e32 v[40:41], v[168:169], v[60:61] /*v[316:317]*/
	s_set_vgpr_msb 64                       ;  msbs: dst=1 src0=0 src1=0 src2=0
	v_mov_b64_e32 v[62:63] /*v[318:319]*/, v[30:31]
	v_mov_b64_e32 v[60:61] /*v[316:317]*/, v[28:29]
	v_dual_mov_b32 v62 /*v318*/, v20 :: v_dual_mov_b32 v63 /*v319*/, v21
	s_delay_alu instid0(VALU_DEP_4)
	v_dual_mov_b32 v58 /*v314*/, v40 :: v_dual_mov_b32 v59 /*v315*/, v41
	s_set_vgpr_msb 0x45                     ;  msbs: dst=1 src0=1 src1=1 src2=0
	s_clause 0x1
	scratch_store_b128 off, v[56:59] /*v[312:315]*/, off offset:1008
	scratch_store_b128 off, v[60:63] /*v[316:319]*/, off offset:1024
	s_wait_xcnt 0x1
	v_mul_f64_e32 v[56:57] /*v[312:313]*/, v[52:53] /*v[308:309]*/, v[100:101] /*v[356:357]*/
	v_mul_f64_e32 v[58:59] /*v[314:315]*/, v[46:47] /*v[302:303]*/, v[100:101] /*v[356:357]*/
	s_wait_xcnt 0x0
	v_mul_f64_e32 v[60:61] /*v[316:317]*/, v[100:101] /*v[356:357]*/, v[100:101] /*v[356:357]*/
	s_set_vgpr_msb 0                        ;  msbs: dst=0 src0=0 src1=0 src2=0
	s_clause 0x1a
	scratch_store_b128 off, v[136:139], off offset:48
	scratch_store_b128 off, v[132:135], off offset:64
	;; [unrolled: 1-line block ×27, first 2 shown]
	s_wait_xcnt 0x0
	v_cndmask_b32_e64 v0, 0, 1, s11
	s_mov_b32 s11, 0
	s_set_vgpr_msb 0x45                     ;  msbs: dst=1 src0=1 src1=1 src2=0
	v_fmac_f64_e32 v[56:57] /*v[312:313]*/, v[54:55] /*v[310:311]*/, v[102:103] /*v[358:359]*/
	v_fmac_f64_e32 v[58:59] /*v[314:315]*/, v[44:45] /*v[300:301]*/, v[102:103] /*v[358:359]*/
	;; [unrolled: 1-line block ×3, first 2 shown]
	s_set_vgpr_msb 0x44                     ;  msbs: dst=1 src0=0 src1=1 src2=0
	v_mul_f64_e32 v[102:103] /*v[358:359]*/, v[178:179], v[66:67] /*v[322:323]*/
	s_set_vgpr_msb 4                        ;  msbs: dst=0 src0=0 src1=1 src2=0
	v_mul_f64_e32 v[178:179], v[180:181], v[66:67] /*v[322:323]*/
	s_set_vgpr_msb 0                        ;  msbs: dst=0 src0=0 src1=0 src2=0
	v_cmp_ne_u32_e32 vcc_lo, 1, v0
	s_clause 0x1
	scratch_store_b128 off, v[140:143], off offset:32
	scratch_store_b128 off, v[120:123], off offset:128
	s_and_b32 vcc_lo, exec_lo, vcc_lo
	s_set_vgpr_msb 0x44                     ;  msbs: dst=1 src0=0 src1=1 src2=0
	v_fmac_f64_e32 v[56:57] /*v[312:313]*/, v[174:175], v[104:105] /*v[360:361]*/
	v_fmac_f64_e32 v[58:59] /*v[314:315]*/, v[172:173], v[104:105] /*v[360:361]*/
	s_set_vgpr_msb 0x45                     ;  msbs: dst=1 src0=1 src1=1 src2=0
	v_fmac_f64_e32 v[60:61] /*v[316:317]*/, v[104:105] /*v[360:361]*/, v[104:105] /*v[360:361]*/
	v_mul_f64_e32 v[104:105] /*v[360:361]*/, 0, v[102:103] /*v[358:359]*/
	s_set_vgpr_msb 0x44                     ;  msbs: dst=1 src0=0 src1=1 src2=0
	v_mul_f64_e64 v[108:109] /*v[364:365]*/, v[178:179], -v[4:5] /*v[260:261]*/
	s_set_vgpr_msb 0                        ;  msbs: dst=0 src0=0 src1=0 src2=0
	v_mul_f64_e32 v[180:181], s[4:5], v[178:179]
	s_set_vgpr_msb 4                        ;  msbs: dst=0 src0=0 src1=1 src2=0
	v_fmac_f64_e32 v[12:13], v[168:169], v[56:57] /*v[312:313]*/
	v_fmac_f64_e32 v[8:9], v[168:169], v[58:59] /*v[314:315]*/
	s_set_vgpr_msb 64                       ;  msbs: dst=1 src0=0 src1=0 src2=0
	v_mov_b64_e32 v[58:59] /*v[314:315]*/, v[14:15]
	s_set_vgpr_msb 4                        ;  msbs: dst=0 src0=0 src1=1 src2=0
	v_fmac_f64_e32 v[4:5], v[168:169], v[60:61] /*v[316:317]*/
	s_set_vgpr_msb 0x45                     ;  msbs: dst=1 src0=1 src1=1 src2=0
	v_mul_f64_e64 v[60:61] /*v[316:317]*/, v[24:25] /*v[280:281]*/, -v[4:5] /*v[260:261]*/
	s_set_vgpr_msb 0x54                     ;  msbs: dst=1 src0=0 src1=1 src2=1
	v_fma_f64 v[30:31] /*v[286:287]*/, v[178:179], -v[4:5] /*v[260:261]*/, v[104:105] /*v[360:361]*/
	v_fma_f64 v[106:107] /*v[362:363]*/, v[178:179], -s[4:5], v[104:105] /*v[360:361]*/
	s_set_vgpr_msb 0x51                     ;  msbs: dst=1 src0=1 src1=0 src2=1
	v_fma_f64 v[28:29] /*v[284:285]*/, v[4:5] /*v[260:261]*/, v[178:179], v[104:105] /*v[360:361]*/
	v_fmac_f64_e32 v[104:105] /*v[360:361]*/, s[4:5], v[178:179]
	s_set_vgpr_msb 5                        ;  msbs: dst=0 src0=1 src1=1 src2=0
	v_fmac_f64_e32 v[180:181], v[2:3] /*v[258:259]*/, v[102:103] /*v[358:359]*/
	s_set_vgpr_msb 64                       ;  msbs: dst=1 src0=0 src1=0 src2=0
	v_mov_b64_e32 v[56:57] /*v[312:313]*/, v[12:13]
	v_dual_mov_b32 v58 /*v314*/, v8 :: v_dual_mov_b32 v59 /*v315*/, v9
	scratch_store_b128 off, v[8:11], off offset:960
	s_set_vgpr_msb 0x51                     ;  msbs: dst=1 src0=1 src1=0 src2=1
	v_fma_f64 v[62:63] /*v[318:319]*/, v[26:27] /*v[282:283]*/, -s[2:3], v[60:61] /*v[316:317]*/
	v_mul_f64_e64 v[60:61] /*v[316:317]*/, v[22:23] /*v[278:279]*/, -s[4:5]
	s_set_vgpr_msb 0x44                     ;  msbs: dst=1 src0=0 src1=1 src2=0
	v_fmac_f64_e32 v[30:31] /*v[286:287]*/, v[176:177], v[118:119] /*v[374:375]*/
	scratch_store_b128 off, v[56:59] /*v[312:315]*/, off offset:1040
	s_wait_xcnt 0x0
	v_mul_f64_e32 v[58:59] /*v[314:315]*/, s[4:5], v[24:25] /*v[280:281]*/
	s_set_vgpr_msb 0x41                     ;  msbs: dst=1 src0=1 src1=0 src2=0
	v_mul_f64_e64 v[56:57] /*v[312:313]*/, v[24:25] /*v[280:281]*/, -s[4:5]
	s_set_vgpr_msb 0x44                     ;  msbs: dst=1 src0=0 src1=1 src2=0
	v_mul_f64_e32 v[24:25] /*v[280:281]*/, 0, v[22:23] /*v[278:279]*/
	v_fmac_f64_e32 v[28:29] /*v[284:285]*/, s[6:7], v[118:119] /*v[374:375]*/
	s_set_vgpr_msb 4                        ;  msbs: dst=0 src0=0 src1=1 src2=0
	v_fmac_f64_e32 v[180:181], 0, v[118:119] /*v[374:375]*/
	s_set_vgpr_msb 64                       ;  msbs: dst=1 src0=0 src1=0 src2=0
	scratch_store_b128 off, v[12:15], off offset:864
	v_fmac_f64_e32 v[60:61] /*v[316:317]*/, s[2:3], v[182:183]
	s_set_vgpr_msb 0x45                     ;  msbs: dst=1 src0=1 src1=1 src2=0
	v_fmac_f64_e32 v[58:59] /*v[314:315]*/, v[2:3] /*v[258:259]*/, v[26:27] /*v[282:283]*/
	v_fmac_f64_e32 v[56:57] /*v[312:313]*/, s[2:3], v[26:27] /*v[282:283]*/
	v_mul_f64_e32 v[26:27] /*v[282:283]*/, v[4:5] /*v[260:261]*/, v[22:23] /*v[278:279]*/
	s_set_vgpr_msb 0x51                     ;  msbs: dst=1 src0=1 src1=0 src2=1
	v_fma_f64 v[98:99] /*v[354:355]*/, v[2:3] /*v[258:259]*/, v[182:183], v[24:25] /*v[280:281]*/
	v_fma_f64 v[86:87] /*v[342:343]*/, s[2:3], v[182:183], v[24:25] /*v[280:281]*/
	s_set_vgpr_msb 0x54                     ;  msbs: dst=1 src0=0 src1=1 src2=1
	v_fma_f64 v[100:101] /*v[356:357]*/, -v[182:183], v[2:3] /*v[258:259]*/, v[24:25] /*v[280:281]*/
	v_fma_f64 v[80:81] /*v[336:337]*/, -v[182:183], s[2:3], v[24:25] /*v[280:281]*/
	s_set_vgpr_msb 0x41                     ;  msbs: dst=1 src0=1 src1=0 src2=0
	v_mul_f64_e32 v[22:23] /*v[278:279]*/, v[4:5] /*v[260:261]*/, v[178:179]
	s_set_vgpr_msb 0x54                     ;  msbs: dst=1 src0=0 src1=1 src2=1
	v_fma_f64 v[76:77] /*v[332:333]*/, v[182:183], -v[2:3] /*v[258:259]*/, v[26:27] /*v[282:283]*/
	s_set_vgpr_msb 0                        ;  msbs: dst=0 src0=0 src1=0 src2=0
	v_mul_f64_e32 v[182:183], 0, v[178:179]
	v_mul_f64_e64 v[178:179], v[178:179], -s[4:5]
	s_set_vgpr_msb 0x55                     ;  msbs: dst=1 src0=1 src1=1 src2=1
	s_delay_alu instid0(VALU_DEP_4) | instskip(SKIP_1) | instid1(VALU_DEP_3)
	v_fma_f64 v[22:23] /*v[278:279]*/, v[102:103] /*v[358:359]*/, -v[2:3] /*v[258:259]*/, v[22:23] /*v[278:279]*/
	s_set_vgpr_msb 0x45                     ;  msbs: dst=1 src0=1 src1=1 src2=0
	v_fma_f64 v[110:111] /*v[366:367]*/, v[2:3] /*v[258:259]*/, v[102:103] /*v[358:359]*/, v[182:183]
	v_fma_f64 v[26:27] /*v[282:283]*/, s[2:3], v[102:103] /*v[358:359]*/, v[182:183]
	v_fma_f64 v[114:115] /*v[370:371]*/, -v[102:103] /*v[358:359]*/, v[2:3] /*v[258:259]*/, v[182:183]
	v_fma_f64 v[24:25] /*v[280:281]*/, -v[102:103] /*v[358:359]*/, s[2:3], v[182:183]
	s_set_vgpr_msb 17                       ;  msbs: dst=0 src0=1 src1=0 src2=1
	v_fma_f64 v[182:183], v[102:103] /*v[358:359]*/, -s[2:3], v[108:109] /*v[364:365]*/
	s_set_vgpr_msb 4                        ;  msbs: dst=0 src0=0 src1=1 src2=0
	v_fmac_f64_e32 v[178:179], s[2:3], v[102:103] /*v[358:359]*/
	s_set_vgpr_msb 0x45                     ;  msbs: dst=1 src0=1 src1=1 src2=0
	v_mul_f64_e32 v[102:103] /*v[358:359]*/, v[10:11] /*v[266:267]*/, v[66:67] /*v[322:323]*/
	v_mul_f64_e32 v[108:109] /*v[364:365]*/, v[12:13] /*v[268:269]*/, v[66:67] /*v[322:323]*/
	v_fmac_f64_e32 v[22:23] /*v[278:279]*/, 0, v[118:119] /*v[374:375]*/
	s_set_vgpr_msb 0x51                     ;  msbs: dst=1 src0=1 src1=0 src2=1
	v_fma_f64 v[66:67] /*v[322:323]*/, v[118:119] /*v[374:375]*/, -v[176:177], v[110:111] /*v[366:367]*/
	s_set_vgpr_msb 0x44                     ;  msbs: dst=1 src0=0 src1=1 src2=0
	v_fmac_f64_e32 v[26:27] /*v[282:283]*/, v[176:177], v[118:119] /*v[374:375]*/
	v_fmac_f64_e32 v[24:25] /*v[280:281]*/, s[6:7], v[118:119] /*v[374:375]*/
	s_set_vgpr_msb 4                        ;  msbs: dst=0 src0=0 src1=1 src2=0
	v_fmac_f64_e32 v[182:183], 0, v[118:119] /*v[374:375]*/
	v_fmac_f64_e32 v[178:179], 0, v[118:119] /*v[374:375]*/
	s_set_vgpr_msb 0x51                     ;  msbs: dst=1 src0=1 src1=0 src2=1
	v_fma_f64 v[136:137] /*v[392:393]*/, v[102:103] /*v[358:359]*/, -v[176:177], v[82:83] /*v[338:339]*/
	s_set_vgpr_msb 0x45                     ;  msbs: dst=1 src0=1 src1=1 src2=0
	v_mul_f64_e32 v[82:83] /*v[338:339]*/, v[36:37] /*v[292:293]*/, v[36:37] /*v[292:293]*/
	v_mul_f64_e32 v[36:37] /*v[292:293]*/, v[36:37] /*v[292:293]*/, v[32:33] /*v[288:289]*/
	;; [unrolled: 1-line block ×3, first 2 shown]
	s_set_vgpr_msb 0x44                     ;  msbs: dst=1 src0=0 src1=1 src2=0
	v_fmac_f64_e32 v[96:97] /*v[352:353]*/, v[176:177], v[108:109] /*v[364:365]*/
	s_set_vgpr_msb 0x51                     ;  msbs: dst=1 src0=1 src1=0 src2=1
	v_fma_f64 v[126:127] /*v[382:383]*/, -v[108:109] /*v[364:365]*/, v[176:177], v[94:95] /*v[350:351]*/
	v_fma_f64 v[138:139] /*v[394:395]*/, v[108:109] /*v[364:365]*/, -v[176:177], v[98:99] /*v[354:355]*/
	s_set_vgpr_msb 0x44                     ;  msbs: dst=1 src0=0 src1=1 src2=0
	v_fmac_f64_e32 v[86:87] /*v[342:343]*/, v[176:177], v[108:109] /*v[364:365]*/
	v_fmac_f64_e32 v[146:147] /*v[402:403]*/, s[6:7], v[108:109] /*v[364:365]*/
	s_set_vgpr_msb 0x51                     ;  msbs: dst=1 src0=1 src1=0 src2=1
	v_fma_f64 v[164:165] /*v[420:421]*/, -v[108:109] /*v[364:365]*/, s[6:7], v[90:91] /*v[346:347]*/
	v_fma_f64 v[116:117] /*v[372:373]*/, v[108:109] /*v[364:365]*/, -s[6:7], v[100:101] /*v[356:357]*/
	s_set_vgpr_msb 0x44                     ;  msbs: dst=1 src0=0 src1=1 src2=0
	v_fmac_f64_e32 v[80:81] /*v[336:337]*/, s[6:7], v[108:109] /*v[364:365]*/
	v_fmac_f64_e32 v[76:77] /*v[332:333]*/, 0, v[108:109] /*v[364:365]*/
	;; [unrolled: 1-line block ×6, first 2 shown]
	s_set_vgpr_msb 0x51                     ;  msbs: dst=1 src0=1 src1=0 src2=1
	v_fma_f64 v[124:125] /*v[380:381]*/, -v[102:103] /*v[358:359]*/, v[176:177], v[72:73] /*v[328:329]*/
	v_fma_f64 v[72:73] /*v[328:329]*/, -v[118:119] /*v[374:375]*/, v[176:177], v[106:107] /*v[362:363]*/
	s_set_vgpr_msb 0x44                     ;  msbs: dst=1 src0=0 src1=1 src2=0
	v_fmac_f64_e32 v[84:85] /*v[340:341]*/, v[176:177], v[102:103] /*v[358:359]*/
	v_fmac_f64_e32 v[134:135] /*v[390:391]*/, s[6:7], v[102:103] /*v[358:359]*/
	s_set_vgpr_msb 0x51                     ;  msbs: dst=1 src0=1 src1=0 src2=1
	v_fma_f64 v[160:161] /*v[416:417]*/, -v[102:103] /*v[358:359]*/, s[6:7], v[74:75] /*v[330:331]*/
	v_fma_f64 v[112:113] /*v[368:369]*/, v[102:103] /*v[358:359]*/, -s[6:7], v[88:89] /*v[344:345]*/
	s_set_vgpr_msb 0x44                     ;  msbs: dst=1 src0=0 src1=1 src2=0
	v_fmac_f64_e32 v[78:79] /*v[334:335]*/, s[6:7], v[102:103] /*v[358:359]*/
	v_fmac_f64_e32 v[68:69] /*v[324:325]*/, 0, v[102:103] /*v[358:359]*/
	;; [unrolled: 1-line block ×5, first 2 shown]
	s_set_vgpr_msb 0x51                     ;  msbs: dst=1 src0=1 src1=0 src2=1
	v_fma_f64 v[74:75] /*v[330:331]*/, -v[118:119] /*v[374:375]*/, s[6:7], v[104:105] /*v[360:361]*/
	s_set_vgpr_msb 17                       ;  msbs: dst=0 src0=1 src1=0 src2=1
	v_fma_f64 v[176:177], v[118:119] /*v[374:375]*/, -s[6:7], v[114:115] /*v[370:371]*/
	s_mov_b64 s[6:7], 0x3fe93cd3a2c8198e
	s_set_vgpr_msb 0x45                     ;  msbs: dst=1 src0=1 src1=1 src2=0
	v_fmac_f64_e32 v[82:83] /*v[338:339]*/, v[38:39] /*v[294:295]*/, v[38:39] /*v[294:295]*/
	v_fmac_f64_e32 v[36:37] /*v[292:293]*/, v[38:39] /*v[294:295]*/, v[34:35] /*v[290:291]*/
	v_mul_f64_e32 v[38:39] /*v[294:295]*/, v[48:49] /*v[304:305]*/, v[42:43] /*v[298:299]*/
	v_mul_f64_e32 v[42:43] /*v[298:299]*/, v[42:43] /*v[298:299]*/, v[42:43] /*v[298:299]*/
	v_fmac_f64_e32 v[32:33] /*v[288:289]*/, v[34:35] /*v[290:291]*/, v[34:35] /*v[290:291]*/
	v_mul_f64_e32 v[34:35] /*v[290:291]*/, v[48:49] /*v[304:305]*/, v[48:49] /*v[304:305]*/
	v_mul_f64_e32 v[48:49] /*v[304:305]*/, v[52:53] /*v[308:309]*/, v[46:47] /*v[302:303]*/
	;; [unrolled: 1-line block ×29, first 2 shown]
	v_fmac_f64_e32 v[38:39] /*v[294:295]*/, v[50:51] /*v[306:307]*/, v[40:41] /*v[296:297]*/
	v_fmac_f64_e32 v[42:43] /*v[298:299]*/, v[40:41] /*v[296:297]*/, v[40:41] /*v[296:297]*/
	v_mul_f64_e32 v[40:41] /*v[296:297]*/, v[52:53] /*v[308:309]*/, v[52:53] /*v[308:309]*/
	v_fmac_f64_e32 v[34:35] /*v[290:291]*/, v[50:51] /*v[306:307]*/, v[50:51] /*v[306:307]*/
	v_fmac_f64_e32 v[48:49] /*v[304:305]*/, v[54:55] /*v[310:311]*/, v[44:45] /*v[300:301]*/
	;; [unrolled: 1-line block ×3, first 2 shown]
	v_mul_f64_e32 v[44:45] /*v[300:301]*/, v[96:97] /*v[352:353]*/, v[96:97] /*v[352:353]*/
	v_mul_f64_e32 v[50:51] /*v[306:307]*/, v[96:97] /*v[352:353]*/, v[126:127] /*v[382:383]*/
	;; [unrolled: 1-line block ×3, first 2 shown]
	v_fmac_f64_e32 v[88:89] /*v[344:345]*/, v[92:93] /*v[348:349]*/, v[136:137] /*v[392:393]*/
	v_fmac_f64_e32 v[90:91] /*v[346:347]*/, v[92:93] /*v[348:349]*/, v[84:85] /*v[340:341]*/
	;; [unrolled: 1-line block ×26, first 2 shown]
	v_mul_f64_e32 v[54:55] /*v[310:311]*/, v[96:97] /*v[352:353]*/, v[164:165] /*v[420:421]*/
	v_mul_f64_e32 v[96:97] /*v[352:353]*/, v[126:127] /*v[382:383]*/, v[146:147] /*v[402:403]*/
	;; [unrolled: 1-line block ×3, first 2 shown]
	v_fmac_f64_e32 v[44:45] /*v[300:301]*/, v[92:93] /*v[348:349]*/, v[92:93] /*v[348:349]*/
	v_fmac_f64_e32 v[50:51] /*v[306:307]*/, v[92:93] /*v[348:349]*/, v[124:125] /*v[380:381]*/
	;; [unrolled: 1-line block ×3, first 2 shown]
	v_mul_f64_e32 v[170:171] /*v[426:427]*/, v[164:165] /*v[420:421]*/, v[80:81] /*v[336:337]*/
	v_mul_f64_e32 v[162:163] /*v[418:419]*/, v[164:165] /*v[420:421]*/, v[76:77] /*v[332:333]*/
	;; [unrolled: 1-line block ×4, first 2 shown]
	v_fmac_f64_e32 v[166:167] /*v[422:423]*/, v[160:161] /*v[416:417]*/, v[84:85] /*v[340:341]*/
	v_mul_f64_e32 v[174:175] /*v[430:431]*/, v[138:139] /*v[394:395]*/, v[86:87] /*v[342:343]*/
	v_mul_f64_e32 v[176:177] /*v[432:433]*/, v[138:139] /*v[394:395]*/, v[116:117] /*v[372:373]*/
	;; [unrolled: 1-line block ×21, first 2 shown]
	v_fmac_f64_e32 v[54:55] /*v[310:311]*/, v[92:93] /*v[348:349]*/, v[160:161] /*v[416:417]*/
	v_mul_f64_e32 v[92:93] /*v[348:349]*/, v[126:127] /*v[382:383]*/, v[126:127] /*v[382:383]*/
	v_fmac_f64_e32 v[96:97] /*v[352:353]*/, v[124:125] /*v[380:381]*/, v[134:135] /*v[390:391]*/
	v_mul_f64_e32 v[126:127] /*v[382:383]*/, v[146:147] /*v[402:403]*/, v[164:165] /*v[420:421]*/
	v_fmac_f64_e32 v[158:159] /*v[414:415]*/, v[160:161] /*v[416:417]*/, v[112:113] /*v[368:369]*/
	s_set_vgpr_msb 64                       ;  msbs: dst=1 src0=0 src1=0 src2=0
	v_fmac_f64_e32 v[38:39] /*v[294:295]*/, v[170:171], v[164:165]
	s_set_vgpr_msb 0x45                     ;  msbs: dst=1 src0=1 src1=1 src2=0
	v_fmac_f64_e32 v[170:171] /*v[426:427]*/, v[160:161] /*v[416:417]*/, v[78:79] /*v[334:335]*/
	v_fmac_f64_e32 v[162:163] /*v[418:419]*/, v[160:161] /*v[416:417]*/, v[68:69] /*v[324:325]*/
	;; [unrolled: 1-line block ×4, first 2 shown]
	s_set_vgpr_msb 64                       ;  msbs: dst=1 src0=0 src1=0 src2=0
	v_fmac_f64_e32 v[36:37] /*v[292:293]*/, v[156:157], v[148:149]
	s_set_vgpr_msb 0x45                     ;  msbs: dst=1 src0=1 src1=1 src2=0
	v_fmac_f64_e32 v[174:175] /*v[430:431]*/, v[136:137] /*v[392:393]*/, v[84:85] /*v[340:341]*/
	v_fmac_f64_e32 v[176:177] /*v[432:433]*/, v[136:137] /*v[392:393]*/, v[112:113] /*v[368:369]*/
	;; [unrolled: 1-line block ×21, first 2 shown]
	s_set_vgpr_msb 64                       ;  msbs: dst=1 src0=0 src1=0 src2=0
	v_fmac_f64_e32 v[48:49] /*v[304:305]*/, v[174:175], v[172:173]
	s_set_vgpr_msb 0x45                     ;  msbs: dst=1 src0=1 src1=1 src2=0
	v_fmac_f64_e32 v[92:93] /*v[348:349]*/, v[124:125] /*v[380:381]*/, v[124:125] /*v[380:381]*/
	v_mul_f64_e32 v[124:125] /*v[380:381]*/, v[146:147] /*v[402:403]*/, v[146:147] /*v[402:403]*/
	v_fmac_f64_e32 v[126:127] /*v[382:383]*/, v[134:135] /*v[390:391]*/, v[160:161] /*v[416:417]*/
	v_mul_f64_e32 v[146:147] /*v[402:403]*/, v[164:165] /*v[420:421]*/, v[138:139] /*v[394:395]*/
	s_set_vgpr_msb 64                       ;  msbs: dst=1 src0=0 src1=0 src2=0
	v_fmac_f64_e32 v[82:83] /*v[338:339]*/, v[156:157], v[156:157]
	v_fmac_f64_e32 v[32:33] /*v[288:289]*/, v[148:149], v[148:149]
	v_fmac_f64_e32 v[34:35] /*v[290:291]*/, v[170:171], v[170:171]
	v_fmac_f64_e32 v[42:43] /*v[298:299]*/, v[164:165], v[164:165]
	v_fmac_f64_e32 v[40:41] /*v[296:297]*/, v[174:175], v[174:175]
	v_fmac_f64_e32 v[46:47] /*v[302:303]*/, v[172:173], v[172:173]
	s_set_vgpr_msb 0x45                     ;  msbs: dst=1 src0=1 src1=1 src2=0
	v_fmac_f64_e32 v[98:99] /*v[354:355]*/, v[30:31] /*v[286:287]*/, v[24:25] /*v[280:281]*/
	s_set_vgpr_msb 0x41                     ;  msbs: dst=1 src0=1 src1=0 src2=0
	v_fmac_f64_e32 v[104:105] /*v[360:361]*/, v[30:31] /*v[286:287]*/, v[182:183]
	v_fmac_f64_e32 v[108:109] /*v[364:365]*/, v[30:31] /*v[286:287]*/, v[178:179]
	s_set_vgpr_msb 0x45                     ;  msbs: dst=1 src0=1 src1=1 src2=0
	v_fmac_f64_e32 v[128:129] /*v[384:385]*/, v[72:73] /*v[328:329]*/, v[24:25] /*v[280:281]*/
	s_set_vgpr_msb 0x41                     ;  msbs: dst=1 src0=1 src1=0 src2=0
	v_fmac_f64_e32 v[130:131] /*v[386:387]*/, v[72:73] /*v[328:329]*/, v[182:183]
	v_fmac_f64_e32 v[132:133] /*v[388:389]*/, v[72:73] /*v[328:329]*/, v[178:179]
	s_set_vgpr_msb 0x45                     ;  msbs: dst=1 src0=1 src1=1 src2=0
	v_fmac_f64_e32 v[90:91] /*v[346:347]*/, v[30:31] /*v[286:287]*/, v[26:27] /*v[282:283]*/
	v_fmac_f64_e32 v[120:121] /*v[376:377]*/, v[72:73] /*v[328:329]*/, v[26:27] /*v[282:283]*/
	;; [unrolled: 1-line block ×8, first 2 shown]
	s_set_vgpr_msb 0x41                     ;  msbs: dst=1 src0=1 src1=0 src2=0
	v_fmac_f64_e32 v[152:153] /*v[408:409]*/, v[28:29] /*v[284:285]*/, v[182:183]
	v_fmac_f64_e32 v[156:157] /*v[412:413]*/, v[28:29] /*v[284:285]*/, v[178:179]
	;; [unrolled: 1-line block ×8, first 2 shown]
	s_set_vgpr_msb 4                        ;  msbs: dst=0 src0=0 src1=1 src2=0
	v_fmac_f64_e32 v[66:67], v[168:169], v[38:39] /*v[294:295]*/
	s_set_vgpr_msb 0x45                     ;  msbs: dst=1 src0=1 src1=1 src2=0
	v_fmac_f64_e32 v[124:125] /*v[380:381]*/, v[134:135] /*v[390:391]*/, v[134:135] /*v[390:391]*/
	v_mul_f64_e32 v[134:135] /*v[390:391]*/, v[164:165] /*v[420:421]*/, v[164:165] /*v[420:421]*/
	v_mul_f64_e32 v[164:165] /*v[420:421]*/, v[164:165] /*v[420:421]*/, v[60:61] /*v[316:317]*/
	v_fmac_f64_e32 v[146:147] /*v[402:403]*/, v[160:161] /*v[416:417]*/, v[136:137] /*v[392:393]*/
	v_fmac_f64_e32 v[88:89] /*v[344:345]*/, v[30:31] /*v[286:287]*/, v[66:67] /*v[322:323]*/
	s_set_vgpr_msb 0x41                     ;  msbs: dst=1 src0=1 src1=0 src2=0
	v_fmac_f64_e32 v[94:95] /*v[350:351]*/, v[30:31] /*v[286:287]*/, v[176:177]
	s_set_vgpr_msb 0x45                     ;  msbs: dst=1 src0=1 src1=1 src2=0
	v_fmac_f64_e32 v[110:111] /*v[366:367]*/, v[72:73] /*v[328:329]*/, v[66:67] /*v[322:323]*/
	s_set_vgpr_msb 0x41                     ;  msbs: dst=1 src0=1 src1=0 src2=0
	v_fmac_f64_e32 v[114:115] /*v[370:371]*/, v[72:73] /*v[328:329]*/, v[176:177]
	s_set_vgpr_msb 64                       ;  msbs: dst=1 src0=0 src1=0 src2=0
	v_fmac_f64_e32 v[200:201] /*v[456:457]*/, v[176:177], v[182:183]
	s_set_vgpr_msb 0x41                     ;  msbs: dst=1 src0=1 src1=0 src2=0
	v_fmac_f64_e32 v[106:107] /*v[362:363]*/, v[30:31] /*v[286:287]*/, v[180:181]
	v_fmac_f64_e32 v[122:123] /*v[378:379]*/, v[72:73] /*v[328:329]*/, v[180:181]
	s_set_vgpr_msb 0x45                     ;  msbs: dst=1 src0=1 src1=1 src2=0
	v_fmac_f64_e32 v[140:141] /*v[396:397]*/, v[28:29] /*v[284:285]*/, v[66:67] /*v[322:323]*/
	s_set_vgpr_msb 4                        ;  msbs: dst=0 src0=0 src1=1 src2=0
	v_fmac_f64_e32 v[146:147], v[168:169], v[36:37] /*v[292:293]*/
	v_fmac_f64_e32 v[18:19], v[168:169], v[48:49] /*v[304:305]*/
	s_set_vgpr_msb 0x41                     ;  msbs: dst=1 src0=1 src1=0 src2=0
	v_fmac_f64_e32 v[144:145] /*v[400:401]*/, v[28:29] /*v[284:285]*/, v[176:177]
	v_fmac_f64_e32 v[158:159] /*v[414:415]*/, v[74:75] /*v[330:331]*/, v[176:177]
	s_set_vgpr_msb 0x45                     ;  msbs: dst=1 src0=1 src1=1 src2=0
	v_fmac_f64_e32 v[44:45] /*v[300:301]*/, v[30:31] /*v[286:287]*/, v[30:31] /*v[286:287]*/
	v_fmac_f64_e32 v[50:51] /*v[306:307]*/, v[30:31] /*v[286:287]*/, v[72:73] /*v[328:329]*/
	;; [unrolled: 1-line block ×9, first 2 shown]
	s_set_vgpr_msb 0x41                     ;  msbs: dst=1 src0=1 src1=0 src2=0
	v_fmac_f64_e32 v[154:155] /*v[410:411]*/, v[28:29] /*v[284:285]*/, v[180:181]
	s_set_vgpr_msb 0x45                     ;  msbs: dst=1 src0=1 src1=1 src2=0
	v_fmac_f64_e32 v[162:163] /*v[418:419]*/, v[74:75] /*v[330:331]*/, v[22:23] /*v[278:279]*/
	s_set_vgpr_msb 0x41                     ;  msbs: dst=1 src0=1 src1=0 src2=0
	v_fmac_f64_e32 v[168:169] /*v[424:425]*/, v[74:75] /*v[330:331]*/, v[180:181]
	s_set_vgpr_msb 0x45                     ;  msbs: dst=1 src0=1 src1=1 src2=0
	v_fmac_f64_e32 v[174:175] /*v[430:431]*/, v[66:67] /*v[322:323]*/, v[26:27] /*v[282:283]*/
	;; [unrolled: 4-line block ×3, first 2 shown]
	v_fmac_f64_e32 v[180:181] /*v[436:437]*/, v[66:67] /*v[322:323]*/, v[22:23] /*v[278:279]*/
	v_fmac_f64_e32 v[124:125] /*v[380:381]*/, v[28:29] /*v[284:285]*/, v[28:29] /*v[284:285]*/
	;; [unrolled: 1-line block ×4, first 2 shown]
	v_mul_f64_e32 v[160:161] /*v[416:417]*/, v[138:139] /*v[394:395]*/, v[138:139] /*v[394:395]*/
	v_mul_f64_e32 v[138:139] /*v[394:395]*/, v[86:87] /*v[342:343]*/, v[116:117] /*v[372:373]*/
	v_fmac_f64_e32 v[146:147] /*v[402:403]*/, v[74:75] /*v[330:331]*/, v[66:67] /*v[322:323]*/
	s_set_vgpr_msb 0x41                     ;  msbs: dst=1 src0=1 src1=0 src2=0
	v_fmac_f64_e32 v[184:185] /*v[440:441]*/, v[66:67] /*v[322:323]*/, v[180:181]
	s_set_vgpr_msb 0x45                     ;  msbs: dst=1 src0=1 src1=1 src2=0
	v_fmac_f64_e32 v[186:187] /*v[442:443]*/, v[26:27] /*v[282:283]*/, v[24:25] /*v[280:281]*/
	v_fmac_f64_e32 v[190:191] /*v[446:447]*/, v[26:27] /*v[282:283]*/, v[22:23] /*v[278:279]*/
	s_set_vgpr_msb 0x41                     ;  msbs: dst=1 src0=1 src1=0 src2=0
	v_fmac_f64_e32 v[192:193] /*v[448:449]*/, v[26:27] /*v[282:283]*/, v[180:181]
	s_set_vgpr_msb 0x44                     ;  msbs: dst=1 src0=0 src1=1 src2=0
	v_fmac_f64_e32 v[198:199] /*v[454:455]*/, v[176:177], v[22:23] /*v[278:279]*/
	s_set_vgpr_msb 64                       ;  msbs: dst=1 src0=0 src1=0 src2=0
	v_fmac_f64_e32 v[202:203] /*v[458:459]*/, v[176:177], v[180:181]
	s_set_vgpr_msb 0x45                     ;  msbs: dst=1 src0=1 src1=1 src2=0
	v_fmac_f64_e32 v[204:205] /*v[460:461]*/, v[24:25] /*v[280:281]*/, v[22:23] /*v[278:279]*/
	s_set_vgpr_msb 0x41                     ;  msbs: dst=1 src0=1 src1=0 src2=0
	v_fmac_f64_e32 v[208:209] /*v[464:465]*/, v[24:25] /*v[280:281]*/, v[180:181]
	v_fmac_f64_e32 v[210:211] /*v[466:467]*/, v[22:23] /*v[278:279]*/, v[182:183]
	v_fmac_f64_e32 v[212:213] /*v[468:469]*/, v[22:23] /*v[278:279]*/, v[180:181]
	s_set_vgpr_msb 64                       ;  msbs: dst=1 src0=0 src1=0 src2=0
	v_fmac_f64_e32 v[214:215] /*v[470:471]*/, v[182:183], v[180:181]
	s_set_vgpr_msb 4                        ;  msbs: dst=0 src0=0 src1=1 src2=0
	v_fmac_f64_e32 v[144:145], v[168:169], v[82:83] /*v[338:339]*/
	v_fmac_f64_e32 v[166:167], v[168:169], v[32:33] /*v[288:289]*/
	;; [unrolled: 1-line block ×15, first 2 shown]
	s_set_vgpr_msb 0                        ;  msbs: dst=0 src0=0 src1=0 src2=0
	scratch_store_b128 off, v[68:71], off offset:384
	s_set_vgpr_msb 0x45                     ;  msbs: dst=1 src0=1 src1=1 src2=0
	v_fmac_f64_e32 v[134:135] /*v[390:391]*/, v[74:75] /*v[330:331]*/, v[74:75] /*v[330:331]*/
	s_set_vgpr_msb 0x41                     ;  msbs: dst=1 src0=1 src1=0 src2=0
	v_fmac_f64_e32 v[164:165] /*v[420:421]*/, v[74:75] /*v[330:331]*/, v[178:179]
	s_set_vgpr_msb 0x45                     ;  msbs: dst=1 src0=1 src1=1 src2=0
	v_fmac_f64_e32 v[160:161] /*v[416:417]*/, v[136:137] /*v[392:393]*/, v[136:137] /*v[392:393]*/
	v_mul_f64_e32 v[136:137] /*v[392:393]*/, v[86:87] /*v[342:343]*/, v[86:87] /*v[342:343]*/
	v_fmac_f64_e32 v[138:139] /*v[394:395]*/, v[84:85] /*v[340:341]*/, v[112:113] /*v[368:369]*/
	v_mul_f64_e32 v[86:87] /*v[342:343]*/, v[116:117] /*v[372:373]*/, v[80:81] /*v[336:337]*/
	s_set_vgpr_msb 4                        ;  msbs: dst=0 src0=0 src1=1 src2=0
	v_fmac_f64_e32 v[98:99], v[168:169], v[142:143] /*v[398:399]*/
	v_fmac_f64_e32 v[82:83], v[168:169], v[166:167] /*v[422:423]*/
	;; [unrolled: 1-line block ×10, first 2 shown]
	v_dual_mov_b32 v156, v66 :: v_dual_mov_b32 v157, v67
	s_set_vgpr_msb 0                        ;  msbs: dst=0 src0=0 src1=0 src2=0
	scratch_store_b128 off, v[52:55], off offset:480
	s_wait_xcnt 0x0
	s_set_vgpr_msb 4                        ;  msbs: dst=0 src0=0 src1=1 src2=0
	v_fmac_f64_e32 v[54:55], v[168:169], v[188:189] /*v[444:445]*/
	v_fmac_f64_e32 v[42:43], v[168:169], v[196:197] /*v[452:453]*/
	;; [unrolled: 1-line block ×8, first 2 shown]
	v_dual_mov_b32 v164, v146 :: v_dual_mov_b32 v165, v147
	v_fmac_f64_e32 v[124:125], v[168:169], v[106:107] /*v[362:363]*/
	v_fmac_f64_e32 v[96:97], v[168:169], v[140:141] /*v[396:397]*/
	v_dual_mov_b32 v148, v18 :: v_dual_mov_b32 v149, v19
	v_fmac_f64_e32 v[70:71], v[168:169], v[164:165] /*v[420:421]*/
	s_set_vgpr_msb 0x45                     ;  msbs: dst=1 src0=1 src1=1 src2=0
	v_fmac_f64_e32 v[160:161] /*v[416:417]*/, v[66:67] /*v[322:323]*/, v[66:67] /*v[322:323]*/
	v_fmac_f64_e32 v[136:137] /*v[392:393]*/, v[84:85] /*v[340:341]*/, v[84:85] /*v[340:341]*/
	v_mul_f64_e32 v[84:85] /*v[340:341]*/, v[116:117] /*v[372:373]*/, v[116:117] /*v[372:373]*/
	v_mul_f64_e32 v[116:117] /*v[372:373]*/, v[116:117] /*v[372:373]*/, v[60:61] /*v[316:317]*/
	v_fmac_f64_e32 v[86:87] /*v[342:343]*/, v[112:113] /*v[368:369]*/, v[78:79] /*v[334:335]*/
	s_set_vgpr_msb 0x41                     ;  msbs: dst=1 src0=1 src1=0 src2=0
	v_fmac_f64_e32 v[138:139] /*v[394:395]*/, v[26:27] /*v[282:283]*/, v[176:177]
	s_set_vgpr_msb 4                        ;  msbs: dst=0 src0=0 src1=1 src2=0
	v_fmac_f64_e32 v[104:105], v[168:169], v[122:123] /*v[378:379]*/
	v_fmac_f64_e32 v[92:93], v[168:169], v[144:145] /*v[400:401]*/
	;; [unrolled: 1-line block ×4, first 2 shown]
	s_set_vgpr_msb 0                        ;  msbs: dst=0 src0=0 src1=0 src2=0
	scratch_store_b128 off, v[144:147], off offset:16
	s_wait_xcnt 0x0
	s_set_vgpr_msb 4                        ;  msbs: dst=0 src0=0 src1=1 src2=0
	v_fmac_f64_e32 v[144:145], v[168:169], v[44:45] /*v[300:301]*/
	v_fmac_f64_e32 v[146:147], v[168:169], v[50:51] /*v[306:307]*/
	;; [unrolled: 1-line block ×6, first 2 shown]
	s_set_vgpr_msb 0                        ;  msbs: dst=0 src0=0 src1=0 src2=0
	scratch_store_b128 off, v[64:67], off offset:432
	s_wait_xcnt 0x0
	s_set_vgpr_msb 4                        ;  msbs: dst=0 src0=0 src1=1 src2=0
	v_fmac_f64_e32 v[66:67], v[168:169], v[174:175] /*v[430:431]*/
	v_fmac_f64_e32 v[60:61], v[168:169], v[176:177] /*v[432:433]*/
	;; [unrolled: 1-line block ×7, first 2 shown]
	s_set_vgpr_msb 0                        ;  msbs: dst=0 src0=0 src1=0 src2=0
	scratch_store_b128 off, v[16:19], off offset:848
	s_wait_xcnt 0x0
	s_set_vgpr_msb 4                        ;  msbs: dst=0 src0=0 src1=1 src2=0
	v_fmac_f64_e32 v[18:19], v[168:169], v[210:211] /*v[466:467]*/
	v_fmac_f64_e32 v[12:13], v[168:169], v[212:213] /*v[468:469]*/
	v_fmac_f64_e32 v[72:73], v[168:169], v[162:163] /*v[418:419]*/
	v_fmac_f64_e32 v[68:69], v[168:169], v[168:169] /*v[424:425]*/
	v_fmac_f64_e32 v[44:45], v[168:169], v[190:191] /*v[446:447]*/
	v_fmac_f64_e32 v[40:41], v[168:169], v[192:193] /*v[448:449]*/
	v_fmac_f64_e32 v[64:65], v[168:169], v[160:161] /*v[416:417]*/
	s_set_vgpr_msb 0x45                     ;  msbs: dst=1 src0=1 src1=1 src2=0
	v_fmac_f64_e32 v[136:137] /*v[392:393]*/, v[26:27] /*v[282:283]*/, v[26:27] /*v[282:283]*/
	v_fmac_f64_e32 v[84:85] /*v[340:341]*/, v[112:113] /*v[368:369]*/, v[112:113] /*v[368:369]*/
	;; [unrolled: 1-line block ×3, first 2 shown]
	v_mul_f64_e32 v[112:113] /*v[368:369]*/, v[80:81] /*v[336:337]*/, v[80:81] /*v[336:337]*/
	v_mul_f64_e32 v[80:81] /*v[336:337]*/, v[80:81] /*v[336:337]*/, v[60:61] /*v[316:317]*/
	s_set_vgpr_msb 0x44                     ;  msbs: dst=1 src0=0 src1=1 src2=0
	v_fmac_f64_e32 v[86:87] /*v[342:343]*/, v[176:177], v[24:25] /*v[280:281]*/
	s_set_vgpr_msb 4                        ;  msbs: dst=0 src0=0 src1=1 src2=0
	v_fmac_f64_e32 v[24:25], v[168:169], v[204:205] /*v[460:461]*/
	v_fmac_f64_e32 v[20:21], v[168:169], v[208:209] /*v[464:465]*/
	s_set_vgpr_msb 0                        ;  msbs: dst=0 src0=0 src1=0 src2=0
	scratch_store_b128 off, v[164:167], off offset:112
	s_wait_xcnt 0x0
	s_set_vgpr_msb 4                        ;  msbs: dst=0 src0=0 src1=1 src2=0
	v_fmac_f64_e32 v[166:167], v[168:169], v[92:93] /*v[348:349]*/
	v_fmac_f64_e32 v[120:121], v[168:169], v[96:97] /*v[352:353]*/
	;; [unrolled: 1-line block ×4, first 2 shown]
	s_set_vgpr_msb 0                        ;  msbs: dst=0 src0=0 src1=0 src2=0
	scratch_store_b128 off, v[156:159], off offset:528
	s_set_vgpr_msb 4                        ;  msbs: dst=0 src0=0 src1=1 src2=0
	v_fmac_f64_e32 v[48:49], v[168:169], v[138:139] /*v[394:395]*/
	v_fmac_f64_e32 v[50:51], v[168:169], v[186:187] /*v[442:443]*/
	s_set_vgpr_msb 0                        ;  msbs: dst=0 src0=0 src1=0 src2=0
	scratch_store_b128 off, v[148:151], off offset:944
	s_set_vgpr_msb 4                        ;  msbs: dst=0 src0=0 src1=1 src2=0
	v_fmac_f64_e32 v[8:9], v[168:169], v[214:215] /*v[470:471]*/
	s_set_vgpr_msb 0                        ;  msbs: dst=0 src0=0 src1=0 src2=0
	s_clause 0x2
	scratch_store_b128 off, v[100:103], off offset:224
	scratch_store_b128 off, v[36:39], off offset:640
	;; [unrolled: 1-line block ×3, first 2 shown]
	s_wait_xcnt 0x2
	s_set_vgpr_msb 4                        ;  msbs: dst=0 src0=0 src1=1 src2=0
	v_fmac_f64_e32 v[100:101], v[168:169], v[124:125] /*v[380:381]*/
	v_fmac_f64_e32 v[102:103], v[168:169], v[126:127] /*v[382:383]*/
	v_dual_mov_b32 v171, v115 :: v_dual_mov_b32 v172, v130
	v_dual_mov_b32 v173, v131 :: v_dual_mov_b32 v174, v110
	v_mov_b32_e32 v175, v111
	s_set_vgpr_msb 64                       ;  msbs: dst=1 src0=0 src1=0 src2=0
	v_mov_b64_e32 v[28:29] /*v[284:285]*/, v[130:131]
	v_mov_b64_e32 v[26:27] /*v[282:283]*/, v[128:129]
	v_dual_mov_b32 v28 /*v284*/, v108 :: v_dual_mov_b32 v29 /*v285*/, v109
	s_set_vgpr_msb 4                        ;  msbs: dst=0 src0=0 src1=1 src2=0
	v_dual_mov_b32 v156, v66 :: v_dual_mov_b32 v157, v67
	v_fmac_f64_e32 v[158:159], v[168:169], v[136:137] /*v[392:393]*/
	s_set_vgpr_msb 64                       ;  msbs: dst=1 src0=0 src1=0 src2=0
	v_fmac_f64_e32 v[84:85] /*v[340:341]*/, v[176:177], v[176:177]
	v_fmac_f64_e32 v[116:117] /*v[372:373]*/, v[176:177], v[178:179]
	s_set_vgpr_msb 0x45                     ;  msbs: dst=1 src0=1 src1=1 src2=0
	v_fmac_f64_e32 v[112:113] /*v[368:369]*/, v[78:79] /*v[334:335]*/, v[78:79] /*v[334:335]*/
	v_fmac_f64_e32 v[80:81] /*v[336:337]*/, v[78:79] /*v[334:335]*/, v[56:57] /*v[312:313]*/
	v_mul_f64_e32 v[78:79] /*v[334:335]*/, v[76:77] /*v[332:333]*/, v[76:77] /*v[332:333]*/
	v_mul_f64_e32 v[76:77] /*v[332:333]*/, v[76:77] /*v[332:333]*/, v[60:61] /*v[316:317]*/
	s_wait_xcnt 0x1
	s_set_vgpr_msb 4                        ;  msbs: dst=0 src0=0 src1=1 src2=0
	v_fmac_f64_e32 v[38:39], v[168:169], v[86:87] /*v[342:343]*/
	v_dual_mov_b32 v176, v126 :: v_dual_mov_b32 v177, v127
	v_dual_mov_b32 v148, v18 :: v_dual_mov_b32 v149, v19
	v_dual_mov_b32 v164, v146 :: v_dual_mov_b32 v165, v147
	v_mov_b32_e32 v170, v114
	s_set_vgpr_msb 0                        ;  msbs: dst=0 src0=0 src1=0 src2=0
	scratch_store_b128 off, v[172:175], off offset:880
	s_wait_xcnt 0x0
	v_dual_mov_b32 v175, v71 :: v_dual_mov_b32 v172, v86
	v_dual_mov_b32 v173, v87 :: v_dual_mov_b32 v174, v70
	;; [unrolled: 1-line block ×3, first 2 shown]
	s_set_vgpr_msb 4                        ;  msbs: dst=0 src0=0 src1=1 src2=0
	v_fmac_f64_e32 v[36:37], v[168:169], v[84:85] /*v[340:341]*/
	v_fmac_f64_e32 v[30:31], v[168:169], v[116:117] /*v[372:373]*/
	s_set_vgpr_msb 0x45                     ;  msbs: dst=1 src0=1 src1=1 src2=0
	v_fmac_f64_e32 v[112:113] /*v[368:369]*/, v[24:25] /*v[280:281]*/, v[24:25] /*v[280:281]*/
	s_set_vgpr_msb 0x41                     ;  msbs: dst=1 src0=1 src1=0 src2=0
	v_fmac_f64_e32 v[80:81] /*v[336:337]*/, v[24:25] /*v[280:281]*/, v[178:179]
	s_set_vgpr_msb 0x45                     ;  msbs: dst=1 src0=1 src1=1 src2=0
	v_fmac_f64_e32 v[78:79] /*v[334:335]*/, v[68:69] /*v[324:325]*/, v[68:69] /*v[324:325]*/
	v_fmac_f64_e32 v[76:77] /*v[332:333]*/, v[68:69] /*v[324:325]*/, v[56:57] /*v[312:313]*/
	v_mul_f64_e32 v[68:69] /*v[324:325]*/, v[70:71] /*v[326:327]*/, v[70:71] /*v[326:327]*/
	v_mul_f64_e32 v[70:71] /*v[326:327]*/, v[70:71] /*v[326:327]*/, v[60:61] /*v[316:317]*/
	s_set_vgpr_msb 64                       ;  msbs: dst=1 src0=0 src1=0 src2=0
	v_dual_mov_b32 v24 /*v280*/, v82 :: v_dual_mov_b32 v25 /*v281*/, v83
	s_set_vgpr_msb 4                        ;  msbs: dst=0 src0=0 src1=1 src2=0
	v_dual_mov_b32 v152, v38 :: v_dual_mov_b32 v153, v39
	v_fmac_f64_e32 v[154:155], v[168:169], v[112:113] /*v[368:369]*/
	v_fmac_f64_e32 v[22:23], v[168:169], v[80:81] /*v[336:337]*/
	s_set_vgpr_msb 0x45                     ;  msbs: dst=1 src0=1 src1=1 src2=0
	v_fmac_f64_e32 v[78:79] /*v[334:335]*/, v[22:23] /*v[278:279]*/, v[22:23] /*v[278:279]*/
	s_set_vgpr_msb 0x41                     ;  msbs: dst=1 src0=1 src1=0 src2=0
	v_fmac_f64_e32 v[76:77] /*v[332:333]*/, v[22:23] /*v[278:279]*/, v[178:179]
	s_set_vgpr_msb 0x45                     ;  msbs: dst=1 src0=1 src1=1 src2=0
	v_fmac_f64_e32 v[68:69] /*v[324:325]*/, v[62:63] /*v[318:319]*/, v[62:63] /*v[318:319]*/
	v_fmac_f64_e32 v[70:71] /*v[326:327]*/, v[62:63] /*v[318:319]*/, v[56:57] /*v[312:313]*/
	v_mul_f64_e32 v[62:63] /*v[318:319]*/, v[64:65] /*v[320:321]*/, v[64:65] /*v[320:321]*/
	v_mul_f64_e32 v[64:65] /*v[320:321]*/, v[64:65] /*v[320:321]*/, v[60:61] /*v[316:317]*/
	s_set_vgpr_msb 64                       ;  msbs: dst=1 src0=0 src1=0 src2=0
	v_dual_mov_b32 v22 /*v278*/, v98 :: v_dual_mov_b32 v23 /*v279*/, v99
	s_set_vgpr_msb 4                        ;  msbs: dst=0 src0=0 src1=1 src2=0
	v_fmac_f64_e32 v[16:17], v[168:169], v[78:79] /*v[334:335]*/
	v_fmac_f64_e32 v[14:15], v[168:169], v[76:77] /*v[332:333]*/
	s_set_vgpr_msb 64                       ;  msbs: dst=1 src0=0 src1=0 src2=0
	v_fmac_f64_e32 v[68:69] /*v[324:325]*/, v[182:183], v[182:183]
	v_fmac_f64_e32 v[70:71] /*v[326:327]*/, v[182:183], v[178:179]
	s_set_vgpr_msb 0x45                     ;  msbs: dst=1 src0=1 src1=1 src2=0
	v_fmac_f64_e32 v[62:63] /*v[318:319]*/, v[58:59] /*v[314:315]*/, v[58:59] /*v[314:315]*/
	v_fmac_f64_e32 v[64:65] /*v[320:321]*/, v[58:59] /*v[314:315]*/, v[56:57] /*v[312:313]*/
	v_mul_f64_e32 v[58:59] /*v[314:315]*/, v[60:61] /*v[316:317]*/, v[60:61] /*v[316:317]*/
	s_set_vgpr_msb 4                        ;  msbs: dst=0 src0=0 src1=1 src2=0
	v_dual_mov_b32 v182, v78 :: v_dual_mov_b32 v183, v79
	v_fmac_f64_e32 v[150:151], v[168:169], v[68:69] /*v[324:325]*/
	v_fmac_f64_e32 v[10:11], v[168:169], v[70:71] /*v[326:327]*/
	s_set_vgpr_msb 64                       ;  msbs: dst=1 src0=0 src1=0 src2=0
	v_fmac_f64_e32 v[62:63] /*v[318:319]*/, v[180:181], v[180:181]
	v_fmac_f64_e32 v[64:65] /*v[320:321]*/, v[180:181], v[178:179]
	s_set_vgpr_msb 0x45                     ;  msbs: dst=1 src0=1 src1=1 src2=0
	v_fmac_f64_e32 v[58:59] /*v[314:315]*/, v[56:57] /*v[312:313]*/, v[56:57] /*v[312:313]*/
	s_set_vgpr_msb 4                        ;  msbs: dst=0 src0=0 src1=1 src2=0
	v_dual_mov_b32 v180, v94 :: v_dual_mov_b32 v181, v95
	s_delay_alu instid0(VALU_DEP_4) | instskip(NEXT) | instid1(VALU_DEP_4)
	v_fmac_f64_e32 v[4:5], v[168:169], v[62:63] /*v[318:319]*/
	v_fmac_f64_e32 v[6:7], v[168:169], v[64:65] /*v[320:321]*/
	s_set_vgpr_msb 64                       ;  msbs: dst=1 src0=0 src1=0 src2=0
	s_delay_alu instid0(VALU_DEP_4)
	v_fmac_f64_e32 v[58:59] /*v[314:315]*/, v[178:179], v[178:179]
	s_set_vgpr_msb 0                        ;  msbs: dst=0 src0=0 src1=0 src2=0
	v_dual_mov_b32 v178, v106 :: v_dual_mov_b32 v179, v107
	scratch_store_b128 off, v[176:179], off offset:1072
	s_wait_xcnt 0x0
	v_dual_mov_b32 v176, v138 :: v_dual_mov_b32 v177, v139
	v_dual_mov_b32 v178, v118 :: v_dual_mov_b32 v179, v119
	;; [unrolled: 1-line block ×3, first 2 shown]
	s_set_vgpr_msb 4                        ;  msbs: dst=0 src0=0 src1=1 src2=0
	v_fmac_f64_e32 v[2:3], v[168:169], v[58:59] /*v[314:315]*/
	v_dual_mov_b32 v168, v134 :: v_dual_mov_b32 v169, v135
	s_set_vgpr_msb 0                        ;  msbs: dst=0 src0=0 src1=0 src2=0
	s_clause 0x3
	scratch_store_b128 off, v[168:171], off offset:688
	scratch_store_b128 off, v[176:179], off offset:496
	s_set_vgpr_msb 4                        ;  msbs: dst=0 src0=0 src1=1 src2=0
	scratch_store_b128 off, v[22:25] /*v[278:281]*/, off offset:512
	s_wait_xcnt 0x1
	v_mov_b64_e32 v[178:179], v[138:139]
	v_dual_mov_b32 v168, v90 :: v_dual_mov_b32 v169, v91
	v_dual_mov_b32 v170, v74 :: v_dual_mov_b32 v171, v75
	s_set_vgpr_msb 0                        ;  msbs: dst=0 src0=0 src1=0 src2=0
	s_clause 0x2
	scratch_store_b128 off, v[180:183], off offset:704
	s_set_vgpr_msb 4                        ;  msbs: dst=0 src0=0 src1=1 src2=0
	scratch_store_b128 off, v[26:29] /*v[282:285]*/, off offset:784
	v_dual_mov_b32 v178, v58 :: v_dual_mov_b32 v179, v59
	s_wait_xcnt 0x1
	v_dual_mov_b32 v180, v46 :: v_dual_mov_b32 v181, v47
	s_set_vgpr_msb 0                        ;  msbs: dst=0 src0=0 src1=0 src2=0
	scratch_store_b128 off, v[168:171], off offset:896
	s_wait_xcnt 0x0
	v_dual_mov_b32 v168, v54 :: v_dual_mov_b32 v169, v55
	v_dual_mov_b32 v170, v42 :: v_dual_mov_b32 v171, v43
	scratch_store_b128 off, v[172:175], off offset:1088
	s_wait_xcnt 0x0
	v_mov_b32_e32 v175, v27
	scratch_store_b128 off, v[178:181], off offset:912
	s_wait_xcnt 0x0
	v_dual_mov_b32 v178, v30 :: v_dual_mov_b32 v179, v31
	v_dual_mov_b32 v180, v22 :: v_dual_mov_b32 v181, v23
	s_set_vgpr_msb 64                       ;  msbs: dst=1 src0=0 src1=0 src2=0
	v_mov_b64_e32 v[24:25] /*v[280:281]*/, v[134:135]
	s_set_vgpr_msb 0                        ;  msbs: dst=0 src0=0 src1=0 src2=0
	v_mov_b64_e32 v[176:177], v[136:137]
	s_set_vgpr_msb 64                       ;  msbs: dst=1 src0=0 src1=0 src2=0
	v_mov_b64_e32 v[22:23] /*v[278:279]*/, v[132:133]
	v_mov_b32_e32 v24 /*v280*/, v112
	scratch_store_b128 off, v[178:181], off offset:1120
	s_wait_xcnt 0x0
	s_set_vgpr_msb 0                        ;  msbs: dst=0 src0=0 src1=0 src2=0
	v_dual_mov_b32 v178, v116 :: v_dual_mov_b32 v179, v117
	s_set_vgpr_msb 64                       ;  msbs: dst=1 src0=0 src1=0 src2=0
	v_mov_b32_e32 v25 /*v281*/, v113
	s_set_vgpr_msb 0                        ;  msbs: dst=0 src0=0 src1=0 src2=0
	v_dual_mov_b32 v172, v34 :: v_dual_mov_b32 v173, v35
	v_mov_b32_e32 v174, v26
	scratch_store_b128 off, v[168:171], off offset:1104
	s_wait_xcnt 0x0
	v_mov_b64_e32 v[170:171], v[98:99]
	s_clause 0x2
	scratch_store_b128 off, v[176:179], off offset:400
	s_set_vgpr_msb 4                        ;  msbs: dst=0 src0=0 src1=1 src2=0
	scratch_store_b128 off, v[22:25] /*v[278:281]*/, off offset:592
	s_wait_xcnt 0x0
	s_set_vgpr_msb 64                       ;  msbs: dst=1 src0=0 src1=0 src2=0
	v_mov_b64_e32 v[24:25] /*v[280:281]*/, v[126:127]
	s_set_vgpr_msb 0                        ;  msbs: dst=0 src0=0 src1=0 src2=0
	v_mov_b64_e32 v[168:169], v[96:97]
	s_set_vgpr_msb 64                       ;  msbs: dst=1 src0=0 src1=0 src2=0
	v_mov_b64_e32 v[22:23] /*v[278:279]*/, v[124:125]
	v_dual_mov_b32 v24 /*v280*/, v104 :: v_dual_mov_b32 v25 /*v281*/, v105
	scratch_store_b128 off, v[172:175], off offset:928
	s_wait_xcnt 0x0
	s_set_vgpr_msb 4                        ;  msbs: dst=0 src0=0 src1=1 src2=0
	v_mov_b64_e32 v[174:175], v[94:95]
	v_mov_b64_e32 v[172:173], v[92:93]
	v_dual_mov_b32 v170, v80 :: v_dual_mov_b32 v171, v81
	v_dual_mov_b32 v174, v76 :: v_dual_mov_b32 v175, v77
	v_mov_b64_e32 v[178:179], v[90:91]
	v_mov_b64_e32 v[176:177], v[88:89]
	;; [unrolled: 1-line block ×4, first 2 shown]
	s_clause 0x9
	scratch_store_b128 off, v[22:25] /*v[278:281]*/, off offset:976
	s_set_vgpr_msb 0                        ;  msbs: dst=0 src0=0 src1=0 src2=0
	scratch_store_b128 off, v[144:147], off offset:16
	scratch_store_b128 off, v[140:143], off offset:32
	;; [unrolled: 1-line block ×8, first 2 shown]
	s_wait_xcnt 0x1
	v_mov_b64_e32 v[170:171], v[142:143]
	v_dual_mov_b32 v178, v72 :: v_dual_mov_b32 v179, v73
	s_wait_xcnt 0x0
	v_mov_b64_e32 v[172:173], v[58:59]
	v_dual_mov_b32 v182, v68 :: v_dual_mov_b32 v183, v69
	v_mov_b64_e32 v[170:171], v[56:57]
	v_dual_mov_b32 v172, v44 :: v_dual_mov_b32 v173, v45
	scratch_store_b128 off, v[176:179], off offset:800
	s_wait_xcnt 0x0
	v_mov_b64_e32 v[176:177], v[54:55]
	v_mov_b64_e32 v[174:175], v[52:53]
	v_dual_mov_b32 v176, v40 :: v_dual_mov_b32 v177, v41
	scratch_store_b128 off, v[180:183], off offset:992
	s_wait_xcnt 0x0
	v_mov_b64_e32 v[180:181], v[34:35]
	v_mov_b64_e32 v[178:179], v[32:33]
	scratch_store_b128 off, v[170:173], off offset:816
	s_wait_xcnt 0x0
	v_mov_b64_e32 v[172:173], v[30:31]
	v_dual_mov_b32 v180, v24 :: v_dual_mov_b32 v181, v25
	v_mov_b64_e32 v[170:171], v[28:29]
	v_dual_mov_b32 v172, v20 :: v_dual_mov_b32 v173, v21
	v_mov_b64_e32 v[168:169], v[140:141]
	s_clause 0x9
	scratch_store_b128 off, v[174:177], off offset:1008
	scratch_store_b128 off, v[96:99], off offset:240
	scratch_store_b128 off, v[92:95], off offset:256
	scratch_store_b128 off, v[88:91], off offset:272
	scratch_store_b128 off, v[84:87], off offset:288
	scratch_store_b128 off, v[64:67], off offset:432
	scratch_store_b128 off, v[60:63], off offset:448
	scratch_store_b128 off, v[56:59], off offset:464
	scratch_store_b128 off, v[52:55], off offset:480
	scratch_store_b128 off, v[178:181], off offset:832
	s_wait_xcnt 0x0
	v_mov_b64_e32 v[180:181], v[62:63]
	s_clause 0x4
	scratch_store_b128 off, v[170:173], off offset:1024
	scratch_store_b128 off, v[32:35], off offset:656
	;; [unrolled: 1-line block ×5, first 2 shown]
	s_wait_xcnt 0x4
	v_dual_mov_b32 v170, v120 :: v_dual_mov_b32 v171, v121
	v_dual_mov_b32 v182, v50 :: v_dual_mov_b32 v183, v51
	v_mov_b64_e32 v[178:179], v[60:61]
	s_set_vgpr_msb 64                       ;  msbs: dst=1 src0=0 src1=0 src2=0
	v_mov_b32_e32 v22 /*v278*/, v14
	scratch_store_b128 off, v[168:171], off offset:208
	s_wait_xcnt 0x0
	s_set_vgpr_msb 0                        ;  msbs: dst=0 src0=0 src1=0 src2=0
	v_mov_b64_e32 v[170:171], v[14:15]
	scratch_store_b128 off, v[180:183], off offset:720
	s_wait_xcnt 0x0
	v_dual_mov_b32 v180, v48 :: v_dual_mov_b32 v181, v49
	v_mov_b64_e32 v[168:169], v[12:13]
	s_set_vgpr_msb 64                       ;  msbs: dst=1 src0=0 src1=0 src2=0
	v_dual_mov_b32 v23 /*v279*/, v15 :: v_dual_mov_b32 v24 /*v280*/, v10
	v_mov_b32_e32 v25 /*v281*/, v11
	s_set_vgpr_msb 0                        ;  msbs: dst=0 src0=0 src1=0 src2=0
	v_dual_mov_b32 v170, v8 :: v_dual_mov_b32 v171, v9
	v_dual_mov_b32 v174, v142 :: v_dual_mov_b32 v175, v143
	s_clause 0xd
	scratch_store_b128 off, v[116:119], off offset:144
	scratch_store_b128 off, v[112:115], off offset:160
	;; [unrolled: 1-line block ×14, first 2 shown]
	v_dual_mov_b32 v176, v122 :: v_dual_mov_b32 v177, v123
	s_clause 0xf
	scratch_store_b128 off, v[156:159], off offset:528
	scratch_store_b128 off, v[48:51], off offset:544
	;; [unrolled: 1-line block ×7, first 2 shown]
	s_set_vgpr_msb 4                        ;  msbs: dst=0 src0=0 src1=1 src2=0
	scratch_store_b128 off, v[22:25] /*v[278:281]*/, off offset:1136
	s_set_vgpr_msb 0                        ;  msbs: dst=0 src0=0 src1=0 src2=0
	scratch_store_b128 off, v[168:171], off offset:1040
	scratch_store_b128 off, v[4:7], off offset:1056
	;; [unrolled: 1-line block ×6, first 2 shown]
	s_cbranch_vccz .LBB2_4
; %bb.5:                                ;   in Loop: Header=BB2_3 Depth=2
	s_mov_b64 s[4:5], 0x3fe93cd3a2c8198e
	s_mov_b32 s6, 8
	s_and_b32 vcc_lo, exec_lo, s10
	s_mov_b32 s10, 0
	s_cbranch_vccz .LBB2_3
; %bb.6:                                ;   in Loop: Header=BB2_2 Depth=1
	s_mov_b64 s[2:3], 0x3fe93cd3a2c8198e
	s_mov_b32 s8, 8
	s_and_b32 vcc_lo, exec_lo, s9
	s_mov_b32 s6, 0
	s_cbranch_vccz .LBB2_2
; %bb.7:
	s_wait_xcnt 0x0
	v_mov_b64_e32 v[0:1], 0
	s_mov_b32 s0, 0
.LBB2_8:                                ; =>This Inner Loop Header: Depth=1
	s_wait_xcnt 0x0
	s_add_co_i32 s1, s0, 16
	s_addk_co_i32 s0, 0x120
	s_clause 0x10
	scratch_load_b128 v[2:5], off, s1
	scratch_load_b128 v[6:9], off, s1 offset:96
	scratch_load_b128 v[10:13], off, s1 offset:192
	;; [unrolled: 1-line block ×16, first 2 shown]
	s_cmp_lg_u32 s0, 0x480
	s_wait_loadcnt 0x10
	v_add_f64_e32 v[2:3], 0, v[2:3]
	s_wait_loadcnt 0xf
	v_add_f64_e32 v[6:7], 0, v[6:7]
	s_wait_loadcnt 0xe
	v_add_f64_e32 v[10:11], 0, v[10:11]
	s_delay_alu instid0(VALU_DEP_3)
	v_add_f64_e32 v[70:71], v[2:3], v[4:5]
	scratch_load_b128 v[2:5], off, s1 offset:272
	v_add_f64_e32 v[6:7], v[6:7], v[8:9]
	v_add_f64_e32 v[10:11], v[10:11], v[12:13]
	s_wait_loadcnt 0xe
	v_add_f64_e32 v[8:9], v[70:71], v[14:15]
	s_wait_loadcnt 0xd
	s_delay_alu instid0(VALU_DEP_3) | instskip(SKIP_1) | instid1(VALU_DEP_3)
	v_add_f64_e32 v[6:7], v[6:7], v[18:19]
	s_wait_loadcnt 0xc
	v_add_f64_e32 v[10:11], v[10:11], v[22:23]
	s_delay_alu instid0(VALU_DEP_3) | instskip(NEXT) | instid1(VALU_DEP_3)
	v_add_f64_e32 v[8:9], v[8:9], v[16:17]
	v_add_f64_e32 v[6:7], v[6:7], v[20:21]
	s_delay_alu instid0(VALU_DEP_3) | instskip(SKIP_1) | instid1(VALU_DEP_3)
	v_add_f64_e32 v[10:11], v[10:11], v[24:25]
	s_wait_loadcnt 0xb
	v_add_f64_e32 v[8:9], v[8:9], v[26:27]
	s_wait_loadcnt 0xa
	s_delay_alu instid0(VALU_DEP_3) | instskip(SKIP_1) | instid1(VALU_DEP_3)
	v_add_f64_e32 v[6:7], v[6:7], v[30:31]
	s_wait_loadcnt 0x9
	v_add_f64_e32 v[10:11], v[10:11], v[34:35]
	s_delay_alu instid0(VALU_DEP_3) | instskip(NEXT) | instid1(VALU_DEP_3)
	v_add_f64_e32 v[8:9], v[8:9], v[28:29]
	v_add_f64_e32 v[6:7], v[6:7], v[32:33]
	s_delay_alu instid0(VALU_DEP_3) | instskip(SKIP_1) | instid1(VALU_DEP_3)
	;; [unrolled: 12-line block ×4, first 2 shown]
	v_add_f64_e32 v[10:11], v[10:11], v[60:61]
	s_wait_loadcnt 0x2
	v_add_f64_e32 v[8:9], v[8:9], v[62:63]
	s_wait_loadcnt 0x1
	s_delay_alu instid0(VALU_DEP_3) | instskip(NEXT) | instid1(VALU_DEP_2)
	v_add_f64_e32 v[6:7], v[6:7], v[66:67]
	v_add_f64_e32 v[8:9], v[8:9], v[64:65]
	s_wait_loadcnt 0x0
	s_delay_alu instid0(VALU_DEP_4) | instskip(NEXT) | instid1(VALU_DEP_3)
	v_add_f64_e32 v[2:3], v[10:11], v[2:3]
	v_add_f64_e32 v[6:7], v[6:7], v[68:69]
	s_delay_alu instid0(VALU_DEP_3) | instskip(NEXT) | instid1(VALU_DEP_3)
	v_add_f64_e32 v[0:1], v[0:1], v[8:9]
	v_add_f64_e32 v[2:3], v[2:3], v[4:5]
	s_delay_alu instid0(VALU_DEP_2) | instskip(NEXT) | instid1(VALU_DEP_1)
	v_add_f64_e32 v[0:1], v[0:1], v[6:7]
	v_add_f64_e32 v[0:1], v[0:1], v[2:3]
	s_cbranch_scc1 .LBB2_8
; %bb.9:
	v_lshl_add_u64 v[2:3], v[184:185], 3, s[20:21]
	global_store_b64 v[2:3], v[0:1], off
.LBB2_10:
	s_sendmsg sendmsg(MSG_DEALLOC_VGPRS)
	s_endpgm
	.section	.rodata,"a",@progbits
	.p2align	6, 0x0
	.amdhsa_kernel _ZN4RAJA6policy3hip4impl18forallp_hip_kernelINS1_8hip_execINS_17iteration_mapping6DirectENS_3hip11IndexGlobalILNS_9named_dimE0ELi256ELi0EEENS7_40AvoidDeviceMaxThreadOccupancyConcretizerINS7_34FractionOffsetOccupancyConcretizerINS_8FractionImLm1ELm1EEELln1EEEEELb1EEENS_9Iterators16numeric_iteratorIllPlEEZN8rajaperf4apps6EDGE3D17runHipVariantImplILm256EEEvNSM_9VariantIDEEUllE0_lNS_4expt15ForallParamPackIJEEES6_SA_TnNSt9enable_ifIXaasr3std10is_base_ofINS5_10DirectBaseET4_EE5valuegtsrT5_10block_sizeLi0EEmE4typeELm256EEEvT1_T0_T2_T3_
		.amdhsa_group_segment_fixed_size 0
		.amdhsa_private_segment_fixed_size 1184
		.amdhsa_kernarg_size 220
		.amdhsa_user_sgpr_count 2
		.amdhsa_user_sgpr_dispatch_ptr 0
		.amdhsa_user_sgpr_queue_ptr 0
		.amdhsa_user_sgpr_kernarg_segment_ptr 1
		.amdhsa_user_sgpr_dispatch_id 0
		.amdhsa_user_sgpr_kernarg_preload_length 0
		.amdhsa_user_sgpr_kernarg_preload_offset 0
		.amdhsa_user_sgpr_private_segment_size 0
		.amdhsa_wavefront_size32 1
		.amdhsa_uses_dynamic_stack 0
		.amdhsa_enable_private_segment 1
		.amdhsa_system_sgpr_workgroup_id_x 1
		.amdhsa_system_sgpr_workgroup_id_y 0
		.amdhsa_system_sgpr_workgroup_id_z 0
		.amdhsa_system_sgpr_workgroup_info 0
		.amdhsa_system_vgpr_workitem_id 0
		.amdhsa_next_free_vgpr 472
		.amdhsa_next_free_sgpr 68
		.amdhsa_named_barrier_count 0
		.amdhsa_reserve_vcc 1
		.amdhsa_float_round_mode_32 0
		.amdhsa_float_round_mode_16_64 0
		.amdhsa_float_denorm_mode_32 3
		.amdhsa_float_denorm_mode_16_64 3
		.amdhsa_fp16_overflow 0
		.amdhsa_memory_ordered 1
		.amdhsa_forward_progress 1
		.amdhsa_inst_pref_size 98
		.amdhsa_round_robin_scheduling 0
		.amdhsa_exception_fp_ieee_invalid_op 0
		.amdhsa_exception_fp_denorm_src 0
		.amdhsa_exception_fp_ieee_div_zero 0
		.amdhsa_exception_fp_ieee_overflow 0
		.amdhsa_exception_fp_ieee_underflow 0
		.amdhsa_exception_fp_ieee_inexact 0
		.amdhsa_exception_int_div_zero 0
	.end_amdhsa_kernel
	.section	.text._ZN4RAJA6policy3hip4impl18forallp_hip_kernelINS1_8hip_execINS_17iteration_mapping6DirectENS_3hip11IndexGlobalILNS_9named_dimE0ELi256ELi0EEENS7_40AvoidDeviceMaxThreadOccupancyConcretizerINS7_34FractionOffsetOccupancyConcretizerINS_8FractionImLm1ELm1EEELln1EEEEELb1EEENS_9Iterators16numeric_iteratorIllPlEEZN8rajaperf4apps6EDGE3D17runHipVariantImplILm256EEEvNSM_9VariantIDEEUllE0_lNS_4expt15ForallParamPackIJEEES6_SA_TnNSt9enable_ifIXaasr3std10is_base_ofINS5_10DirectBaseET4_EE5valuegtsrT5_10block_sizeLi0EEmE4typeELm256EEEvT1_T0_T2_T3_,"axG",@progbits,_ZN4RAJA6policy3hip4impl18forallp_hip_kernelINS1_8hip_execINS_17iteration_mapping6DirectENS_3hip11IndexGlobalILNS_9named_dimE0ELi256ELi0EEENS7_40AvoidDeviceMaxThreadOccupancyConcretizerINS7_34FractionOffsetOccupancyConcretizerINS_8FractionImLm1ELm1EEELln1EEEEELb1EEENS_9Iterators16numeric_iteratorIllPlEEZN8rajaperf4apps6EDGE3D17runHipVariantImplILm256EEEvNSM_9VariantIDEEUllE0_lNS_4expt15ForallParamPackIJEEES6_SA_TnNSt9enable_ifIXaasr3std10is_base_ofINS5_10DirectBaseET4_EE5valuegtsrT5_10block_sizeLi0EEmE4typeELm256EEEvT1_T0_T2_T3_,comdat
.Lfunc_end2:
	.size	_ZN4RAJA6policy3hip4impl18forallp_hip_kernelINS1_8hip_execINS_17iteration_mapping6DirectENS_3hip11IndexGlobalILNS_9named_dimE0ELi256ELi0EEENS7_40AvoidDeviceMaxThreadOccupancyConcretizerINS7_34FractionOffsetOccupancyConcretizerINS_8FractionImLm1ELm1EEELln1EEEEELb1EEENS_9Iterators16numeric_iteratorIllPlEEZN8rajaperf4apps6EDGE3D17runHipVariantImplILm256EEEvNSM_9VariantIDEEUllE0_lNS_4expt15ForallParamPackIJEEES6_SA_TnNSt9enable_ifIXaasr3std10is_base_ofINS5_10DirectBaseET4_EE5valuegtsrT5_10block_sizeLi0EEmE4typeELm256EEEvT1_T0_T2_T3_, .Lfunc_end2-_ZN4RAJA6policy3hip4impl18forallp_hip_kernelINS1_8hip_execINS_17iteration_mapping6DirectENS_3hip11IndexGlobalILNS_9named_dimE0ELi256ELi0EEENS7_40AvoidDeviceMaxThreadOccupancyConcretizerINS7_34FractionOffsetOccupancyConcretizerINS_8FractionImLm1ELm1EEELln1EEEEELb1EEENS_9Iterators16numeric_iteratorIllPlEEZN8rajaperf4apps6EDGE3D17runHipVariantImplILm256EEEvNSM_9VariantIDEEUllE0_lNS_4expt15ForallParamPackIJEEES6_SA_TnNSt9enable_ifIXaasr3std10is_base_ofINS5_10DirectBaseET4_EE5valuegtsrT5_10block_sizeLi0EEmE4typeELm256EEEvT1_T0_T2_T3_
                                        ; -- End function
	.set _ZN4RAJA6policy3hip4impl18forallp_hip_kernelINS1_8hip_execINS_17iteration_mapping6DirectENS_3hip11IndexGlobalILNS_9named_dimE0ELi256ELi0EEENS7_40AvoidDeviceMaxThreadOccupancyConcretizerINS7_34FractionOffsetOccupancyConcretizerINS_8FractionImLm1ELm1EEELln1EEEEELb1EEENS_9Iterators16numeric_iteratorIllPlEEZN8rajaperf4apps6EDGE3D17runHipVariantImplILm256EEEvNSM_9VariantIDEEUllE0_lNS_4expt15ForallParamPackIJEEES6_SA_TnNSt9enable_ifIXaasr3std10is_base_ofINS5_10DirectBaseET4_EE5valuegtsrT5_10block_sizeLi0EEmE4typeELm256EEEvT1_T0_T2_T3_.num_vgpr, 472
	.set _ZN4RAJA6policy3hip4impl18forallp_hip_kernelINS1_8hip_execINS_17iteration_mapping6DirectENS_3hip11IndexGlobalILNS_9named_dimE0ELi256ELi0EEENS7_40AvoidDeviceMaxThreadOccupancyConcretizerINS7_34FractionOffsetOccupancyConcretizerINS_8FractionImLm1ELm1EEELln1EEEEELb1EEENS_9Iterators16numeric_iteratorIllPlEEZN8rajaperf4apps6EDGE3D17runHipVariantImplILm256EEEvNSM_9VariantIDEEUllE0_lNS_4expt15ForallParamPackIJEEES6_SA_TnNSt9enable_ifIXaasr3std10is_base_ofINS5_10DirectBaseET4_EE5valuegtsrT5_10block_sizeLi0EEmE4typeELm256EEEvT1_T0_T2_T3_.num_agpr, 0
	.set _ZN4RAJA6policy3hip4impl18forallp_hip_kernelINS1_8hip_execINS_17iteration_mapping6DirectENS_3hip11IndexGlobalILNS_9named_dimE0ELi256ELi0EEENS7_40AvoidDeviceMaxThreadOccupancyConcretizerINS7_34FractionOffsetOccupancyConcretizerINS_8FractionImLm1ELm1EEELln1EEEEELb1EEENS_9Iterators16numeric_iteratorIllPlEEZN8rajaperf4apps6EDGE3D17runHipVariantImplILm256EEEvNSM_9VariantIDEEUllE0_lNS_4expt15ForallParamPackIJEEES6_SA_TnNSt9enable_ifIXaasr3std10is_base_ofINS5_10DirectBaseET4_EE5valuegtsrT5_10block_sizeLi0EEmE4typeELm256EEEvT1_T0_T2_T3_.numbered_sgpr, 68
	.set _ZN4RAJA6policy3hip4impl18forallp_hip_kernelINS1_8hip_execINS_17iteration_mapping6DirectENS_3hip11IndexGlobalILNS_9named_dimE0ELi256ELi0EEENS7_40AvoidDeviceMaxThreadOccupancyConcretizerINS7_34FractionOffsetOccupancyConcretizerINS_8FractionImLm1ELm1EEELln1EEEEELb1EEENS_9Iterators16numeric_iteratorIllPlEEZN8rajaperf4apps6EDGE3D17runHipVariantImplILm256EEEvNSM_9VariantIDEEUllE0_lNS_4expt15ForallParamPackIJEEES6_SA_TnNSt9enable_ifIXaasr3std10is_base_ofINS5_10DirectBaseET4_EE5valuegtsrT5_10block_sizeLi0EEmE4typeELm256EEEvT1_T0_T2_T3_.num_named_barrier, 0
	.set _ZN4RAJA6policy3hip4impl18forallp_hip_kernelINS1_8hip_execINS_17iteration_mapping6DirectENS_3hip11IndexGlobalILNS_9named_dimE0ELi256ELi0EEENS7_40AvoidDeviceMaxThreadOccupancyConcretizerINS7_34FractionOffsetOccupancyConcretizerINS_8FractionImLm1ELm1EEELln1EEEEELb1EEENS_9Iterators16numeric_iteratorIllPlEEZN8rajaperf4apps6EDGE3D17runHipVariantImplILm256EEEvNSM_9VariantIDEEUllE0_lNS_4expt15ForallParamPackIJEEES6_SA_TnNSt9enable_ifIXaasr3std10is_base_ofINS5_10DirectBaseET4_EE5valuegtsrT5_10block_sizeLi0EEmE4typeELm256EEEvT1_T0_T2_T3_.private_seg_size, 1184
	.set _ZN4RAJA6policy3hip4impl18forallp_hip_kernelINS1_8hip_execINS_17iteration_mapping6DirectENS_3hip11IndexGlobalILNS_9named_dimE0ELi256ELi0EEENS7_40AvoidDeviceMaxThreadOccupancyConcretizerINS7_34FractionOffsetOccupancyConcretizerINS_8FractionImLm1ELm1EEELln1EEEEELb1EEENS_9Iterators16numeric_iteratorIllPlEEZN8rajaperf4apps6EDGE3D17runHipVariantImplILm256EEEvNSM_9VariantIDEEUllE0_lNS_4expt15ForallParamPackIJEEES6_SA_TnNSt9enable_ifIXaasr3std10is_base_ofINS5_10DirectBaseET4_EE5valuegtsrT5_10block_sizeLi0EEmE4typeELm256EEEvT1_T0_T2_T3_.uses_vcc, 1
	.set _ZN4RAJA6policy3hip4impl18forallp_hip_kernelINS1_8hip_execINS_17iteration_mapping6DirectENS_3hip11IndexGlobalILNS_9named_dimE0ELi256ELi0EEENS7_40AvoidDeviceMaxThreadOccupancyConcretizerINS7_34FractionOffsetOccupancyConcretizerINS_8FractionImLm1ELm1EEELln1EEEEELb1EEENS_9Iterators16numeric_iteratorIllPlEEZN8rajaperf4apps6EDGE3D17runHipVariantImplILm256EEEvNSM_9VariantIDEEUllE0_lNS_4expt15ForallParamPackIJEEES6_SA_TnNSt9enable_ifIXaasr3std10is_base_ofINS5_10DirectBaseET4_EE5valuegtsrT5_10block_sizeLi0EEmE4typeELm256EEEvT1_T0_T2_T3_.uses_flat_scratch, 1
	.set _ZN4RAJA6policy3hip4impl18forallp_hip_kernelINS1_8hip_execINS_17iteration_mapping6DirectENS_3hip11IndexGlobalILNS_9named_dimE0ELi256ELi0EEENS7_40AvoidDeviceMaxThreadOccupancyConcretizerINS7_34FractionOffsetOccupancyConcretizerINS_8FractionImLm1ELm1EEELln1EEEEELb1EEENS_9Iterators16numeric_iteratorIllPlEEZN8rajaperf4apps6EDGE3D17runHipVariantImplILm256EEEvNSM_9VariantIDEEUllE0_lNS_4expt15ForallParamPackIJEEES6_SA_TnNSt9enable_ifIXaasr3std10is_base_ofINS5_10DirectBaseET4_EE5valuegtsrT5_10block_sizeLi0EEmE4typeELm256EEEvT1_T0_T2_T3_.has_dyn_sized_stack, 0
	.set _ZN4RAJA6policy3hip4impl18forallp_hip_kernelINS1_8hip_execINS_17iteration_mapping6DirectENS_3hip11IndexGlobalILNS_9named_dimE0ELi256ELi0EEENS7_40AvoidDeviceMaxThreadOccupancyConcretizerINS7_34FractionOffsetOccupancyConcretizerINS_8FractionImLm1ELm1EEELln1EEEEELb1EEENS_9Iterators16numeric_iteratorIllPlEEZN8rajaperf4apps6EDGE3D17runHipVariantImplILm256EEEvNSM_9VariantIDEEUllE0_lNS_4expt15ForallParamPackIJEEES6_SA_TnNSt9enable_ifIXaasr3std10is_base_ofINS5_10DirectBaseET4_EE5valuegtsrT5_10block_sizeLi0EEmE4typeELm256EEEvT1_T0_T2_T3_.has_recursion, 0
	.set _ZN4RAJA6policy3hip4impl18forallp_hip_kernelINS1_8hip_execINS_17iteration_mapping6DirectENS_3hip11IndexGlobalILNS_9named_dimE0ELi256ELi0EEENS7_40AvoidDeviceMaxThreadOccupancyConcretizerINS7_34FractionOffsetOccupancyConcretizerINS_8FractionImLm1ELm1EEELln1EEEEELb1EEENS_9Iterators16numeric_iteratorIllPlEEZN8rajaperf4apps6EDGE3D17runHipVariantImplILm256EEEvNSM_9VariantIDEEUllE0_lNS_4expt15ForallParamPackIJEEES6_SA_TnNSt9enable_ifIXaasr3std10is_base_ofINS5_10DirectBaseET4_EE5valuegtsrT5_10block_sizeLi0EEmE4typeELm256EEEvT1_T0_T2_T3_.has_indirect_call, 0
	.section	.AMDGPU.csdata,"",@progbits
; Kernel info:
; codeLenInByte = 12428
; TotalNumSgprs: 70
; NumVgprs: 472
; ScratchSize: 1184
; MemoryBound: 0
; FloatMode: 240
; IeeeMode: 1
; LDSByteSize: 0 bytes/workgroup (compile time only)
; SGPRBlocks: 0
; VGPRBlocks: 29
; NumSGPRsForWavesPerEU: 70
; NumVGPRsForWavesPerEU: 472
; NamedBarCnt: 0
; Occupancy: 2
; WaveLimiterHint : 1
; COMPUTE_PGM_RSRC2:SCRATCH_EN: 1
; COMPUTE_PGM_RSRC2:USER_SGPR: 2
; COMPUTE_PGM_RSRC2:TRAP_HANDLER: 0
; COMPUTE_PGM_RSRC2:TGID_X_EN: 1
; COMPUTE_PGM_RSRC2:TGID_Y_EN: 0
; COMPUTE_PGM_RSRC2:TGID_Z_EN: 0
; COMPUTE_PGM_RSRC2:TIDIG_COMP_CNT: 0
	.section	.AMDGPU.gpr_maximums,"",@progbits
	.set amdgpu.max_num_vgpr, 0
	.set amdgpu.max_num_agpr, 0
	.set amdgpu.max_num_sgpr, 0
	.section	.AMDGPU.csdata,"",@progbits
	.type	__hip_cuid_3d7a120c80d8b7b8,@object ; @__hip_cuid_3d7a120c80d8b7b8
	.section	.bss,"aw",@nobits
	.globl	__hip_cuid_3d7a120c80d8b7b8
__hip_cuid_3d7a120c80d8b7b8:
	.byte	0                               ; 0x0
	.size	__hip_cuid_3d7a120c80d8b7b8, 1

	.ident	"AMD clang version 22.0.0git (https://github.com/RadeonOpenCompute/llvm-project roc-7.2.4 26084 f58b06dce1f9c15707c5f808fd002e18c2accf7e)"
	.section	".note.GNU-stack","",@progbits
	.addrsig
	.addrsig_sym __hip_cuid_3d7a120c80d8b7b8
	.amdgpu_metadata
---
amdhsa.kernels:
  - .args:
      - .address_space:  global
        .offset:         0
        .size:           8
        .value_kind:     global_buffer
      - .address_space:  global
        .offset:         8
        .size:           8
        .value_kind:     global_buffer
      - .address_space:  global
        .offset:         16
        .size:           8
        .value_kind:     global_buffer
      - .address_space:  global
        .offset:         24
        .size:           8
        .value_kind:     global_buffer
      - .address_space:  global
        .offset:         32
        .size:           8
        .value_kind:     global_buffer
      - .address_space:  global
        .offset:         40
        .size:           8
        .value_kind:     global_buffer
      - .address_space:  global
        .offset:         48
        .size:           8
        .value_kind:     global_buffer
      - .address_space:  global
        .offset:         56
        .size:           8
        .value_kind:     global_buffer
      - .address_space:  global
        .offset:         64
        .size:           8
        .value_kind:     global_buffer
      - .address_space:  global
        .offset:         72
        .size:           8
        .value_kind:     global_buffer
      - .address_space:  global
        .offset:         80
        .size:           8
        .value_kind:     global_buffer
      - .address_space:  global
        .offset:         88
        .size:           8
        .value_kind:     global_buffer
      - .address_space:  global
        .offset:         96
        .size:           8
        .value_kind:     global_buffer
      - .address_space:  global
        .offset:         104
        .size:           8
        .value_kind:     global_buffer
      - .address_space:  global
        .offset:         112
        .size:           8
        .value_kind:     global_buffer
      - .address_space:  global
        .offset:         120
        .size:           8
        .value_kind:     global_buffer
      - .address_space:  global
        .offset:         128
        .size:           8
        .value_kind:     global_buffer
      - .address_space:  global
        .offset:         136
        .size:           8
        .value_kind:     global_buffer
      - .address_space:  global
        .offset:         144
        .size:           8
        .value_kind:     global_buffer
      - .address_space:  global
        .offset:         152
        .size:           8
        .value_kind:     global_buffer
      - .address_space:  global
        .offset:         160
        .size:           8
        .value_kind:     global_buffer
      - .address_space:  global
        .offset:         168
        .size:           8
        .value_kind:     global_buffer
      - .address_space:  global
        .offset:         176
        .size:           8
        .value_kind:     global_buffer
      - .address_space:  global
        .offset:         184
        .size:           8
        .value_kind:     global_buffer
      - .address_space:  global
        .offset:         192
        .size:           8
        .value_kind:     global_buffer
      - .offset:         200
        .size:           8
        .value_kind:     by_value
      - .offset:         208
        .size:           8
        .value_kind:     by_value
    .group_segment_fixed_size: 0
    .kernarg_segment_align: 8
    .kernarg_segment_size: 216
    .language:       OpenCL C
    .language_version:
      - 2
      - 0
    .max_flat_workgroup_size: 256
    .name:           _ZN8rajaperf4apps6edge3dILm256EEEvPdS2_S2_S2_S2_S2_S2_S2_S2_S2_S2_S2_S2_S2_S2_S2_S2_S2_S2_S2_S2_S2_S2_S2_S2_ll
    .private_segment_fixed_size: 1184
    .sgpr_count:     70
    .sgpr_spill_count: 0
    .symbol:         _ZN8rajaperf4apps6edge3dILm256EEEvPdS2_S2_S2_S2_S2_S2_S2_S2_S2_S2_S2_S2_S2_S2_S2_S2_S2_S2_S2_S2_S2_S2_S2_S2_ll.kd
    .uniform_work_group_size: 1
    .uses_dynamic_stack: false
    .vgpr_count:     472
    .vgpr_spill_count: 0
    .wavefront_size: 32
  - .args:
      - .offset:         0
        .size:           8
        .value_kind:     by_value
      - .offset:         8
        .size:           8
        .value_kind:     by_value
      - .offset:         16
        .size:           200
        .value_kind:     by_value
    .group_segment_fixed_size: 0
    .kernarg_segment_align: 8
    .kernarg_segment_size: 216
    .language:       OpenCL C
    .language_version:
      - 2
      - 0
    .max_flat_workgroup_size: 256
    .name:           _ZN8rajaperf17lambda_hip_forallILm256EZNS_4apps6EDGE3D17runHipVariantImplILm256EEEvNS_9VariantIDEEUllE_EEvllT0_
    .private_segment_fixed_size: 1184
    .sgpr_count:     70
    .sgpr_spill_count: 0
    .symbol:         _ZN8rajaperf17lambda_hip_forallILm256EZNS_4apps6EDGE3D17runHipVariantImplILm256EEEvNS_9VariantIDEEUllE_EEvllT0_.kd
    .uniform_work_group_size: 1
    .uses_dynamic_stack: false
    .vgpr_count:     472
    .vgpr_spill_count: 0
    .wavefront_size: 32
  - .args:
      - .offset:         0
        .size:           200
        .value_kind:     by_value
      - .offset:         200
        .size:           8
        .value_kind:     by_value
      - .offset:         208
        .size:           8
        .value_kind:     by_value
      - .offset:         216
        .size:           1
        .value_kind:     by_value
    .group_segment_fixed_size: 0
    .kernarg_segment_align: 8
    .kernarg_segment_size: 220
    .language:       OpenCL C
    .language_version:
      - 2
      - 0
    .max_flat_workgroup_size: 256
    .name:           _ZN4RAJA6policy3hip4impl18forallp_hip_kernelINS1_8hip_execINS_17iteration_mapping6DirectENS_3hip11IndexGlobalILNS_9named_dimE0ELi256ELi0EEENS7_40AvoidDeviceMaxThreadOccupancyConcretizerINS7_34FractionOffsetOccupancyConcretizerINS_8FractionImLm1ELm1EEELln1EEEEELb1EEENS_9Iterators16numeric_iteratorIllPlEEZN8rajaperf4apps6EDGE3D17runHipVariantImplILm256EEEvNSM_9VariantIDEEUllE0_lNS_4expt15ForallParamPackIJEEES6_SA_TnNSt9enable_ifIXaasr3std10is_base_ofINS5_10DirectBaseET4_EE5valuegtsrT5_10block_sizeLi0EEmE4typeELm256EEEvT1_T0_T2_T3_
    .private_segment_fixed_size: 1184
    .sgpr_count:     70
    .sgpr_spill_count: 0
    .symbol:         _ZN4RAJA6policy3hip4impl18forallp_hip_kernelINS1_8hip_execINS_17iteration_mapping6DirectENS_3hip11IndexGlobalILNS_9named_dimE0ELi256ELi0EEENS7_40AvoidDeviceMaxThreadOccupancyConcretizerINS7_34FractionOffsetOccupancyConcretizerINS_8FractionImLm1ELm1EEELln1EEEEELb1EEENS_9Iterators16numeric_iteratorIllPlEEZN8rajaperf4apps6EDGE3D17runHipVariantImplILm256EEEvNSM_9VariantIDEEUllE0_lNS_4expt15ForallParamPackIJEEES6_SA_TnNSt9enable_ifIXaasr3std10is_base_ofINS5_10DirectBaseET4_EE5valuegtsrT5_10block_sizeLi0EEmE4typeELm256EEEvT1_T0_T2_T3_.kd
    .uniform_work_group_size: 1
    .uses_dynamic_stack: false
    .vgpr_count:     472
    .vgpr_spill_count: 0
    .wavefront_size: 32
amdhsa.target:   amdgcn-amd-amdhsa--gfx1250
amdhsa.version:
  - 1
  - 2
...

	.end_amdgpu_metadata
